;; amdgpu-corpus repo=ROCm/rocFFT kind=compiled arch=gfx950 opt=O3
	.text
	.amdgcn_target "amdgcn-amd-amdhsa--gfx950"
	.amdhsa_code_object_version 6
	.protected	fft_rtc_fwd_len160_factors_2_4_4_5_wgs_250_tpt_10_dim3_sp_ip_CI_sbcc_twdbase8_2step_dirReg ; -- Begin function fft_rtc_fwd_len160_factors_2_4_4_5_wgs_250_tpt_10_dim3_sp_ip_CI_sbcc_twdbase8_2step_dirReg
	.globl	fft_rtc_fwd_len160_factors_2_4_4_5_wgs_250_tpt_10_dim3_sp_ip_CI_sbcc_twdbase8_2step_dirReg
	.p2align	8
	.type	fft_rtc_fwd_len160_factors_2_4_4_5_wgs_250_tpt_10_dim3_sp_ip_CI_sbcc_twdbase8_2step_dirReg,@function
fft_rtc_fwd_len160_factors_2_4_4_5_wgs_250_tpt_10_dim3_sp_ip_CI_sbcc_twdbase8_2step_dirReg: ; @fft_rtc_fwd_len160_factors_2_4_4_5_wgs_250_tpt_10_dim3_sp_ip_CI_sbcc_twdbase8_2step_dirReg
; %bb.0:
	s_load_dwordx4 s[4:7], s[0:1], 0x10
	s_mov_b32 s3, 0
	s_mov_b64 s[20:21], 0
	s_waitcnt lgkmcnt(0)
	s_load_dwordx2 s[10:11], s[4:5], 0x8
	s_waitcnt lgkmcnt(0)
	s_add_u32 s8, s10, -1
	s_addc_u32 s9, s11, -1
	s_add_u32 s12, 0, 0xd7093700
	s_addc_u32 s13, 0, 51
	s_mul_hi_u32 s15, s12, 0xffffffe7
	s_add_i32 s13, s13, 0xa3d7070
	s_sub_i32 s15, s15, s12
	s_mul_i32 s18, s13, 0xffffffe7
	s_mul_i32 s14, s12, 0xffffffe7
	s_add_i32 s15, s15, s18
	s_mul_hi_u32 s16, s13, s14
	s_mul_i32 s17, s13, s14
	s_mul_i32 s19, s12, s15
	s_mul_hi_u32 s14, s12, s14
	s_mul_hi_u32 s18, s12, s15
	s_add_u32 s14, s14, s19
	s_addc_u32 s18, 0, s18
	s_add_u32 s14, s14, s17
	s_mul_hi_u32 s19, s13, s15
	s_addc_u32 s14, s18, s16
	s_addc_u32 s16, s19, 0
	s_mul_i32 s15, s13, s15
	s_add_u32 s14, s14, s15
	v_mov_b32_e32 v1, s14
	s_addc_u32 s15, 0, s16
	v_add_co_u32_e32 v1, vcc, s12, v1
	s_cmp_lg_u64 vcc, 0
	s_addc_u32 s12, s13, s15
	v_readfirstlane_b32 s15, v1
	s_mul_i32 s14, s8, s12
	s_mul_hi_u32 s16, s8, s15
	s_mul_hi_u32 s13, s8, s12
	s_add_u32 s14, s16, s14
	s_addc_u32 s13, 0, s13
	s_mul_hi_u32 s17, s9, s15
	s_mul_i32 s15, s9, s15
	s_add_u32 s14, s14, s15
	s_mul_hi_u32 s16, s9, s12
	s_addc_u32 s13, s13, s17
	s_addc_u32 s14, s16, 0
	s_mul_i32 s12, s9, s12
	s_add_u32 s12, s13, s12
	s_addc_u32 s13, 0, s14
	s_add_u32 s14, s12, 1
	s_addc_u32 s15, s13, 0
	s_add_u32 s16, s12, 2
	s_mul_i32 s18, s13, 25
	s_mul_hi_u32 s19, s12, 25
	s_addc_u32 s17, s13, 0
	s_add_i32 s19, s19, s18
	s_mul_i32 s18, s12, 25
	v_mov_b32_e32 v1, s18
	v_sub_co_u32_e32 v1, vcc, s8, v1
	s_cmp_lg_u64 vcc, 0
	s_subb_u32 s8, s9, s19
	v_subrev_co_u32_e32 v2, vcc, 25, v1
	s_cmp_lg_u64 vcc, 0
	s_subb_u32 s9, s8, 0
	v_readfirstlane_b32 s18, v2
	s_cmp_gt_u32 s18, 24
	s_cselect_b32 s18, -1, 0
	s_cmp_eq_u32 s9, 0
	s_cselect_b32 s9, s18, -1
	s_cmp_lg_u32 s9, 0
	s_cselect_b32 s9, s16, s14
	s_cselect_b32 s14, s17, s15
	v_readfirstlane_b32 s15, v1
	s_cmp_gt_u32 s15, 24
	s_cselect_b32 s15, -1, 0
	s_cmp_eq_u32 s8, 0
	s_cselect_b32 s8, s15, -1
	s_cmp_lg_u32 s8, 0
	s_cselect_b32 s9, s9, s12
	s_cselect_b32 s8, s14, s13
	s_add_u32 s18, s9, 1
	s_addc_u32 s19, s8, 0
	v_mov_b64_e32 v[2:3], s[18:19]
	v_cmp_lt_u64_e32 vcc, s[2:3], v[2:3]
	s_cbranch_vccnz .LBB0_2
; %bb.1:
	v_cvt_f32_u32_e32 v1, s18
	s_sub_i32 s8, 0, s18
	s_mov_b32 s21, s3
	v_rcp_iflag_f32_e32 v1, v1
	s_nop 0
	v_mul_f32_e32 v1, 0x4f7ffffe, v1
	v_cvt_u32_f32_e32 v1, v1
	s_nop 0
	v_readfirstlane_b32 s9, v1
	s_mul_i32 s8, s8, s9
	s_mul_hi_u32 s8, s9, s8
	s_add_i32 s9, s9, s8
	s_mul_hi_u32 s8, s2, s9
	s_mul_i32 s12, s8, s18
	s_sub_i32 s12, s2, s12
	s_add_i32 s9, s8, 1
	s_sub_i32 s13, s12, s18
	s_cmp_ge_u32 s12, s18
	s_cselect_b32 s8, s9, s8
	s_cselect_b32 s12, s13, s12
	s_add_i32 s9, s8, 1
	s_cmp_ge_u32 s12, s18
	s_cselect_b32 s20, s9, s8
.LBB0_2:
	s_load_dwordx2 s[8:9], s[4:5], 0x10
	s_load_dwordx2 s[12:13], s[6:7], 0x8
	s_mov_b64 s[4:5], s[20:21]
	s_waitcnt lgkmcnt(0)
	v_mov_b64_e32 v[2:3], s[8:9]
	v_cmp_lt_u64_e32 vcc, s[20:21], v[2:3]
	s_cbranch_vccnz .LBB0_4
; %bb.3:
	v_cvt_f32_u32_e32 v1, s8
	s_sub_i32 s4, 0, s8
	v_rcp_iflag_f32_e32 v1, v1
	s_nop 0
	v_mul_f32_e32 v1, 0x4f7ffffe, v1
	v_cvt_u32_f32_e32 v1, v1
	s_nop 0
	v_readfirstlane_b32 s5, v1
	s_mul_i32 s4, s4, s5
	s_mul_hi_u32 s4, s5, s4
	s_add_i32 s5, s5, s4
	s_mul_hi_u32 s4, s20, s5
	s_mul_i32 s4, s4, s8
	s_sub_i32 s4, s20, s4
	s_sub_i32 s5, s4, s8
	s_cmp_ge_u32 s4, s8
	s_cselect_b32 s4, s5, s4
	s_sub_i32 s5, s4, s8
	s_cmp_ge_u32 s4, s8
	s_cselect_b32 s4, s5, s4
.LBB0_4:
	s_mul_i32 s5, s8, s19
	s_mul_hi_u32 s16, s8, s18
	s_add_i32 s5, s16, s5
	s_mul_i32 s9, s9, s18
	s_load_dwordx2 s[14:15], s[0:1], 0x50
	s_add_i32 s17, s5, s9
	s_mul_i32 s16, s8, s18
	s_load_dwordx2 s[8:9], s[6:7], 0x0
	s_load_dwordx2 s[22:23], s[6:7], 0x10
	v_mov_b64_e32 v[2:3], s[16:17]
	v_cmp_lt_u64_e32 vcc, s[2:3], v[2:3]
	s_mov_b64 s[24:25], 0
	s_cbranch_vccnz .LBB0_6
; %bb.5:
	v_cvt_f32_u32_e32 v1, s16
	s_sub_i32 s3, 0, s16
	v_rcp_iflag_f32_e32 v1, v1
	s_nop 0
	v_mul_f32_e32 v1, 0x4f7ffffe, v1
	v_cvt_u32_f32_e32 v1, v1
	s_nop 0
	v_readfirstlane_b32 s5, v1
	s_mul_i32 s3, s3, s5
	s_mul_hi_u32 s3, s5, s3
	s_add_i32 s5, s5, s3
	s_mul_hi_u32 s3, s2, s5
	s_mul_i32 s17, s3, s16
	s_sub_i32 s17, s2, s17
	s_add_i32 s5, s3, 1
	s_sub_i32 s21, s17, s16
	s_cmp_ge_u32 s17, s16
	s_cselect_b32 s3, s5, s3
	s_cselect_b32 s17, s21, s17
	s_add_i32 s5, s3, 1
	s_cmp_ge_u32 s17, s16
	s_cselect_b32 s24, s5, s3
.LBB0_6:
	s_mul_i32 s3, s20, s19
	s_mul_hi_u32 s5, s20, s18
	s_add_i32 s5, s5, s3
	s_mul_i32 s3, s20, s18
	s_sub_u32 s18, s2, s3
	s_subb_u32 s2, 0, s5
	s_mul_i32 s5, s2, 25
	s_mul_hi_u32 s2, s18, 25
	s_add_i32 s19, s2, s5
	s_mul_i32 s20, s18, 25
	s_mul_i32 s2, s12, s19
	s_mul_hi_u32 s3, s12, s20
	s_add_i32 s2, s3, s2
	s_mul_i32 s3, s13, s20
	s_add_i32 s21, s2, s3
	s_load_dwordx2 s[2:3], s[6:7], 0x18
	s_waitcnt lgkmcnt(0)
	s_mul_i32 s23, s23, s4
	s_mul_hi_u32 s26, s22, s4
	s_mul_i32 s25, s12, s20
	s_add_i32 s26, s26, s23
	s_mul_i32 s4, s22, s4
	s_add_u32 s4, s4, s25
	s_mul_i32 s3, s3, s24
	s_mul_hi_u32 s6, s2, s24
	v_mul_u32_u24_e32 v1, 0xa3e, v0
	s_addc_u32 s7, s26, s21
	s_add_i32 s3, s6, s3
	s_mul_i32 s2, s2, s24
	v_lshrrev_b32_e32 v1, 16, v1
	s_add_u32 s6, s2, s4
	v_mul_lo_u16_e32 v2, 25, v1
	s_load_dwordx2 s[16:17], s[0:1], 0x0
	s_addc_u32 s7, s3, s7
	v_sub_u16_e32 v38, v0, v2
	v_mov_b32_e32 v39, 0
	v_mad_u64_u32 v[40:41], s[2:3], s18, 25, v[38:39]
	s_add_u32 s4, s20, 25
	v_add_u32_e32 v41, s5, v41
	s_addc_u32 s5, s19, 0
	v_mov_b64_e32 v[2:3], s[10:11]
	v_cmp_gt_u64_e32 vcc, s[4:5], v[2:3]
	v_cmp_le_u64_e64 s[2:3], s[4:5], v[2:3]
	s_and_b64 vcc, exec, vcc
	v_add_u32_e32 v34, 10, v1
	v_add_u32_e32 v35, 20, v1
	;; [unrolled: 1-line block ×4, first 2 shown]
	s_cbranch_vccnz .LBB0_8
; %bb.7:
	v_mad_u64_u32 v[2:3], s[4:5], s12, v38, 0
	v_mov_b32_e32 v4, v3
	v_mad_u64_u32 v[4:5], s[4:5], s13, v38, v[4:5]
	v_mov_b32_e32 v3, v4
	;; [unrolled: 2-line block ×3, first 2 shown]
	v_mad_u64_u32 v[6:7], s[4:5], s9, v1, v[6:7]
	s_lshl_b64 s[4:5], s[6:7], 3
	s_add_u32 s4, s14, s4
	s_addc_u32 s5, s15, s5
	v_mov_b32_e32 v5, v6
	v_lshl_add_u64 v[26:27], v[2:3], 3, s[4:5]
	v_lshl_add_u64 v[10:11], v[4:5], 3, v[26:27]
	v_or_b32_e32 v5, 0x50, v1
	v_mad_u64_u32 v[2:3], s[4:5], s8, v5, 0
	v_mov_b32_e32 v4, v3
	v_mad_u64_u32 v[4:5], s[4:5], s9, v5, v[4:5]
	v_mov_b32_e32 v3, v4
	v_add_u32_e32 v95, 10, v1
	v_lshl_add_u64 v[12:13], v[2:3], 3, v[26:27]
	v_mad_u64_u32 v[2:3], s[4:5], s8, v95, 0
	v_mov_b32_e32 v4, v3
	v_mad_u64_u32 v[4:5], s[4:5], s9, v95, v[4:5]
	v_mov_b32_e32 v3, v4
	v_add_u32_e32 v5, 0x5a, v1
	v_lshl_add_u64 v[14:15], v[2:3], 3, v[26:27]
	;; [unrolled: 6-line block ×3, first 2 shown]
	global_load_dwordx2 v[6:7], v[10:11], off
	global_load_dwordx2 v[8:9], v[12:13], off
	;; [unrolled: 1-line block ×4, first 2 shown]
	v_mad_u64_u32 v[10:11], s[4:5], s8, v94, 0
	v_mov_b32_e32 v12, v11
	v_mad_u64_u32 v[12:13], s[4:5], s9, v94, v[12:13]
	v_mov_b32_e32 v11, v12
	v_add_u32_e32 v13, 0x64, v1
	v_lshl_add_u64 v[18:19], v[10:11], 3, v[26:27]
	v_mad_u64_u32 v[10:11], s[4:5], s8, v13, 0
	v_mov_b32_e32 v12, v11
	v_mad_u64_u32 v[12:13], s[4:5], s9, v13, v[12:13]
	v_mov_b32_e32 v11, v12
	v_add_u32_e32 v39, 30, v1
	v_lshl_add_u64 v[20:21], v[10:11], 3, v[26:27]
	;; [unrolled: 6-line block ×4, first 2 shown]
	global_load_dwordx2 v[10:11], v[18:19], off
	global_load_dwordx2 v[14:15], v[20:21], off
	;; [unrolled: 1-line block ×4, first 2 shown]
	v_mad_u64_u32 v[18:19], s[4:5], s8, v42, 0
	v_mov_b32_e32 v20, v19
	v_mad_u64_u32 v[20:21], s[4:5], s9, v42, v[20:21]
	v_mov_b32_e32 v19, v20
	v_add_u32_e32 v21, 0x78, v1
	v_lshl_add_u64 v[28:29], v[18:19], 3, v[26:27]
	v_mad_u64_u32 v[18:19], s[4:5], s8, v21, 0
	v_mov_b32_e32 v20, v19
	v_mad_u64_u32 v[20:21], s[4:5], s9, v21, v[20:21]
	v_mov_b32_e32 v19, v20
	v_add_u32_e32 v21, 50, v1
	v_lshl_add_u64 v[30:31], v[18:19], 3, v[26:27]
	;; [unrolled: 6-line block ×3, first 2 shown]
	v_mad_u64_u32 v[18:19], s[4:5], s8, v21, 0
	v_mov_b32_e32 v20, v19
	v_mad_u64_u32 v[20:21], s[4:5], s9, v21, v[20:21]
	v_mov_b32_e32 v19, v20
	v_lshl_add_u64 v[44:45], v[18:19], 3, v[26:27]
	global_load_dwordx2 v[18:19], v[28:29], off
	global_load_dwordx2 v[22:23], v[30:31], off
	;; [unrolled: 1-line block ×4, first 2 shown]
	v_add_u32_e32 v31, 60, v1
	v_mad_u64_u32 v[28:29], s[4:5], s8, v31, 0
	v_mov_b32_e32 v30, v29
	v_mad_u64_u32 v[30:31], s[4:5], s9, v31, v[30:31]
	v_mov_b32_e32 v29, v30
	v_add_u32_e32 v31, 0x8c, v1
	v_lshl_add_u64 v[44:45], v[28:29], 3, v[26:27]
	v_mad_u64_u32 v[28:29], s[4:5], s8, v31, 0
	v_mov_b32_e32 v30, v29
	v_mad_u64_u32 v[30:31], s[4:5], s9, v31, v[30:31]
	v_mov_b32_e32 v29, v30
	v_add_u32_e32 v31, 0x46, v1
	v_lshl_add_u64 v[46:47], v[28:29], 3, v[26:27]
	;; [unrolled: 6-line block ×3, first 2 shown]
	v_mad_u64_u32 v[28:29], s[4:5], s8, v31, 0
	v_mov_b32_e32 v30, v29
	v_mad_u64_u32 v[30:31], s[4:5], s9, v31, v[30:31]
	v_mov_b32_e32 v29, v30
	v_lshl_add_u64 v[50:51], v[28:29], 3, v[26:27]
	global_load_dwordx2 v[28:29], v[44:45], off
	global_load_dwordx2 v[32:33], v[46:47], off
	;; [unrolled: 1-line block ×4, first 2 shown]
	s_cbranch_execz .LBB0_9
	s_branch .LBB0_14
.LBB0_8:
                                        ; implicit-def: $vgpr5
                                        ; implicit-def: $vgpr3
                                        ; implicit-def: $vgpr15
                                        ; implicit-def: $vgpr11
                                        ; implicit-def: $vgpr17
                                        ; implicit-def: $vgpr13
                                        ; implicit-def: $vgpr23
                                        ; implicit-def: $vgpr19
                                        ; implicit-def: $vgpr31
                                        ; implicit-def: $vgpr27
                                        ; implicit-def: $vgpr33
                                        ; implicit-def: $vgpr29
                                        ; implicit-def: $vgpr25
                                        ; implicit-def: $vgpr21
                                        ; implicit-def: $vgpr9
                                        ; implicit-def: $vgpr7
                                        ; implicit-def: $vgpr95
                                        ; implicit-def: $vgpr94
                                        ; implicit-def: $vgpr39
                                        ; implicit-def: $vgpr42
.LBB0_9:
	v_cmp_le_u64_e32 vcc, s[10:11], v[40:41]
                                        ; implicit-def: $vgpr95
                                        ; implicit-def: $vgpr94
                                        ; implicit-def: $vgpr39
                                        ; implicit-def: $vgpr42
	s_and_saveexec_b64 s[4:5], vcc
	s_xor_b64 s[4:5], exec, s[4:5]
; %bb.10:
	v_add_u32_e32 v95, 10, v1
	v_add_u32_e32 v94, 20, v1
	;; [unrolled: 1-line block ×4, first 2 shown]
                                        ; implicit-def: $vgpr34
                                        ; implicit-def: $vgpr35
                                        ; implicit-def: $vgpr36
                                        ; implicit-def: $vgpr37
; %bb.11:
	s_or_saveexec_b64 s[4:5], s[4:5]
                                        ; implicit-def: $vgpr5
                                        ; implicit-def: $vgpr3
                                        ; implicit-def: $vgpr15
                                        ; implicit-def: $vgpr11
                                        ; implicit-def: $vgpr17
                                        ; implicit-def: $vgpr13
                                        ; implicit-def: $vgpr23
                                        ; implicit-def: $vgpr19
                                        ; implicit-def: $vgpr31
                                        ; implicit-def: $vgpr27
                                        ; implicit-def: $vgpr33
                                        ; implicit-def: $vgpr29
                                        ; implicit-def: $vgpr25
                                        ; implicit-def: $vgpr21
                                        ; implicit-def: $vgpr9
                                        ; implicit-def: $vgpr7
	s_xor_b64 exec, exec, s[4:5]
	s_cbranch_execz .LBB0_13
; %bb.12:
	s_waitcnt vmcnt(13)
	v_mad_u64_u32 v[2:3], s[18:19], s12, v38, 0
	s_waitcnt vmcnt(12)
	v_mov_b32_e32 v4, v3
	v_mad_u64_u32 v[4:5], s[18:19], s13, v38, v[4:5]
	v_mov_b32_e32 v3, v4
	v_mad_u64_u32 v[4:5], s[18:19], s8, v1, 0
	;; [unrolled: 2-line block ×3, first 2 shown]
	s_lshl_b64 s[18:19], s[6:7], 3
	s_add_u32 s18, s14, s18
	s_addc_u32 s19, s15, s19
	v_mov_b32_e32 v5, v6
	s_waitcnt vmcnt(1)
	v_lshl_add_u64 v[26:27], v[2:3], 3, s[18:19]
	v_lshl_add_u64 v[10:11], v[4:5], 3, v[26:27]
	v_or_b32_e32 v5, 0x50, v1
	v_mad_u64_u32 v[2:3], s[18:19], s8, v5, 0
	v_mov_b32_e32 v4, v3
	v_mad_u64_u32 v[4:5], s[18:19], s9, v5, v[4:5]
	v_mov_b32_e32 v3, v4
	v_lshl_add_u64 v[12:13], v[2:3], 3, v[26:27]
	v_mad_u64_u32 v[2:3], s[18:19], s8, v34, 0
	v_mov_b32_e32 v4, v3
	v_mad_u64_u32 v[4:5], s[18:19], s9, v34, v[4:5]
	v_mov_b32_e32 v3, v4
	v_add_u32_e32 v5, 0x5a, v1
	v_lshl_add_u64 v[14:15], v[2:3], 3, v[26:27]
	v_mad_u64_u32 v[2:3], s[18:19], s8, v5, 0
	v_mov_b32_e32 v4, v3
	v_mad_u64_u32 v[4:5], s[18:19], s9, v5, v[4:5]
	v_mov_b32_e32 v3, v4
	v_lshl_add_u64 v[16:17], v[2:3], 3, v[26:27]
	global_load_dwordx2 v[6:7], v[10:11], off
	global_load_dwordx2 v[8:9], v[12:13], off
	;; [unrolled: 1-line block ×4, first 2 shown]
	v_mad_u64_u32 v[10:11], s[18:19], s8, v35, 0
	v_mov_b32_e32 v12, v11
	v_mad_u64_u32 v[12:13], s[18:19], s9, v35, v[12:13]
	v_mov_b32_e32 v11, v12
	v_add_u32_e32 v13, 0x64, v1
	v_lshl_add_u64 v[18:19], v[10:11], 3, v[26:27]
	v_mad_u64_u32 v[10:11], s[18:19], s8, v13, 0
	v_mov_b32_e32 v12, v11
	v_mad_u64_u32 v[12:13], s[18:19], s9, v13, v[12:13]
	v_mov_b32_e32 v11, v12
	v_lshl_add_u64 v[20:21], v[10:11], 3, v[26:27]
	v_mad_u64_u32 v[10:11], s[18:19], s8, v36, 0
	v_mov_b32_e32 v12, v11
	v_mad_u64_u32 v[12:13], s[18:19], s9, v36, v[12:13]
	v_mov_b32_e32 v11, v12
	v_add_u32_e32 v13, 0x6e, v1
	v_lshl_add_u64 v[22:23], v[10:11], 3, v[26:27]
	v_mad_u64_u32 v[10:11], s[18:19], s8, v13, 0
	v_mov_b32_e32 v12, v11
	v_mad_u64_u32 v[12:13], s[18:19], s9, v13, v[12:13]
	v_mov_b32_e32 v11, v12
	v_lshl_add_u64 v[24:25], v[10:11], 3, v[26:27]
	global_load_dwordx2 v[10:11], v[18:19], off
	global_load_dwordx2 v[14:15], v[20:21], off
	;; [unrolled: 1-line block ×4, first 2 shown]
	v_mad_u64_u32 v[18:19], s[18:19], s8, v37, 0
	v_mov_b32_e32 v20, v19
	v_mad_u64_u32 v[20:21], s[18:19], s9, v37, v[20:21]
	v_mov_b32_e32 v19, v20
	v_add_u32_e32 v21, 0x78, v1
	v_lshl_add_u64 v[28:29], v[18:19], 3, v[26:27]
	v_mad_u64_u32 v[18:19], s[18:19], s8, v21, 0
	v_mov_b32_e32 v20, v19
	v_mad_u64_u32 v[20:21], s[18:19], s9, v21, v[20:21]
	v_mov_b32_e32 v19, v20
	v_add_u32_e32 v21, 50, v1
	s_waitcnt vmcnt(8)
	v_lshl_add_u64 v[30:31], v[18:19], 3, v[26:27]
	v_mad_u64_u32 v[18:19], s[18:19], s8, v21, 0
	v_mov_b32_e32 v20, v19
	v_mad_u64_u32 v[20:21], s[18:19], s9, v21, v[20:21]
	v_mov_b32_e32 v19, v20
	v_add_u32_e32 v21, 0x82, v1
	v_lshl_add_u64 v[32:33], v[18:19], 3, v[26:27]
	v_mad_u64_u32 v[18:19], s[18:19], s8, v21, 0
	v_mov_b32_e32 v20, v19
	v_mad_u64_u32 v[20:21], s[18:19], s9, v21, v[20:21]
	v_mov_b32_e32 v19, v20
	v_lshl_add_u64 v[42:43], v[18:19], 3, v[26:27]
	global_load_dwordx2 v[18:19], v[28:29], off
	global_load_dwordx2 v[22:23], v[30:31], off
	;; [unrolled: 1-line block ×4, first 2 shown]
	v_add_u32_e32 v31, 60, v1
	v_mad_u64_u32 v[28:29], s[18:19], s8, v31, 0
	v_mov_b32_e32 v30, v29
	v_mad_u64_u32 v[30:31], s[18:19], s9, v31, v[30:31]
	v_mov_b32_e32 v29, v30
	v_add_u32_e32 v31, 0x8c, v1
	v_lshl_add_u64 v[42:43], v[28:29], 3, v[26:27]
	v_mad_u64_u32 v[28:29], s[18:19], s8, v31, 0
	v_mov_b32_e32 v30, v29
	v_mad_u64_u32 v[30:31], s[18:19], s9, v31, v[30:31]
	v_mov_b32_e32 v29, v30
	v_add_u32_e32 v31, 0x46, v1
	v_lshl_add_u64 v[44:45], v[28:29], 3, v[26:27]
	;; [unrolled: 6-line block ×3, first 2 shown]
	v_mad_u64_u32 v[28:29], s[18:19], s8, v31, 0
	v_mov_b32_e32 v30, v29
	v_mad_u64_u32 v[30:31], s[18:19], s9, v31, v[30:31]
	v_mov_b32_e32 v29, v30
	v_lshl_add_u64 v[48:49], v[28:29], 3, v[26:27]
	global_load_dwordx2 v[28:29], v[42:43], off
	global_load_dwordx2 v[32:33], v[44:45], off
	;; [unrolled: 1-line block ×4, first 2 shown]
	v_mov_b32_e32 v95, v34
	v_mov_b32_e32 v94, v35
	;; [unrolled: 1-line block ×4, first 2 shown]
.LBB0_13:
	s_or_b64 exec, exec, s[4:5]
.LBB0_14:
	s_waitcnt vmcnt(14)
	v_pk_add_f32 v[8:9], v[6:7], v[8:9] neg_lo:[0,1] neg_hi:[0,1]
	s_waitcnt vmcnt(12)
	v_pk_add_f32 v[34:35], v[2:3], v[4:5] neg_lo:[0,1] neg_hi:[0,1]
	v_mul_u32_u24_e32 v5, 0x190, v1
	v_lshlrev_b32_e32 v4, 3, v38
	v_add3_u32 v5, 0, v5, v4
	v_pk_fma_f32 v[6:7], v[6:7], 2.0, v[8:9] op_sel_hi:[1,0,1] neg_lo:[0,0,1] neg_hi:[0,0,1]
	ds_write2_b64 v5, v[6:7], v[8:9] offset1:25
	v_mul_i32_i24_e32 v6, 0x190, v95
	v_add3_u32 v6, 0, v6, v4
	v_pk_fma_f32 v[2:3], v[2:3], 2.0, v[34:35] op_sel_hi:[1,0,1] neg_lo:[0,0,1] neg_hi:[0,0,1]
	s_waitcnt vmcnt(10)
	v_pk_add_f32 v[14:15], v[10:11], v[14:15] neg_lo:[0,1] neg_hi:[0,1]
	ds_write2_b64 v6, v[2:3], v[34:35] offset1:25
	v_mul_i32_i24_e32 v2, 0x190, v94
	v_add3_u32 v6, 0, v2, v4
	v_pk_fma_f32 v[2:3], v[10:11], 2.0, v[14:15] op_sel_hi:[1,0,1] neg_lo:[0,0,1] neg_hi:[0,0,1]
	s_waitcnt vmcnt(8)
	v_pk_add_f32 v[16:17], v[12:13], v[16:17] neg_lo:[0,1] neg_hi:[0,1]
	;; [unrolled: 6-line block ×3, first 2 shown]
	ds_write2_b64 v6, v[2:3], v[16:17] offset1:25
	v_mul_i32_i24_e32 v2, 0x190, v42
	s_waitcnt vmcnt(4)
	v_pk_add_f32 v[24:25], v[20:21], v[24:25] neg_lo:[0,1] neg_hi:[0,1]
	v_add3_u32 v10, 0, v2, v4
	v_pk_fma_f32 v[2:3], v[18:19], 2.0, v[22:23] op_sel_hi:[1,0,1] neg_lo:[0,0,1] neg_hi:[0,0,1]
	s_waitcnt vmcnt(2)
	v_pk_add_f32 v[32:33], v[28:29], v[32:33] neg_lo:[0,1] neg_hi:[0,1]
	ds_write2_b64 v10, v[2:3], v[22:23] offset1:25
	v_pk_fma_f32 v[2:3], v[20:21], 2.0, v[24:25] op_sel_hi:[1,0,1] neg_lo:[0,0,1] neg_hi:[0,0,1]
	v_add_u32_e32 v6, 0x4800, v5
	s_waitcnt vmcnt(0)
	v_pk_add_f32 v[30:31], v[26:27], v[30:31] neg_lo:[0,1] neg_hi:[0,1]
	ds_write2_b64 v6, v[2:3], v[24:25] offset0:196 offset1:221
	v_pk_fma_f32 v[2:3], v[28:29], 2.0, v[32:33] op_sel_hi:[1,0,1] neg_lo:[0,0,1] neg_hi:[0,0,1]
	v_add_u32_e32 v6, 0x5800, v5
	ds_write2_b64 v6, v[2:3], v[32:33] offset0:184 offset1:209
	v_pk_fma_f32 v[2:3], v[26:27], 2.0, v[30:31] op_sel_hi:[1,0,1] neg_lo:[0,0,1] neg_hi:[0,0,1]
	v_add_u32_e32 v6, 0x6800, v5
	v_and_b32_e32 v68, 1, v1
	ds_write2_b64 v6, v[2:3], v[30:31] offset0:172 offset1:197
	v_mul_u32_u24_e32 v2, 3, v68
	v_lshlrev_b32_e32 v11, 3, v2
	s_waitcnt lgkmcnt(0)
	s_barrier
	global_load_dwordx4 v[6:9], v11, s[16:17]
	global_load_dwordx2 v[2:3], v11, s[16:17] offset:16
	s_movk_i32 s4, 0xff38
	v_mad_i32_i24 v18, v1, s4, v5
	v_mad_i32_i24 v5, v42, s4, v10
	v_add_u32_e32 v10, 0x2400, v18
	v_mul_i32_i24_e32 v11, 0xc8, v95
	ds_read2_b32 v[26:27], v10 offset0:196 offset1:197
	v_mul_i32_i24_e32 v12, 0xc8, v39
	v_add3_u32 v20, 0, v11, v4
	v_add_u32_e32 v14, 0x3e80, v18
	v_add_u32_e32 v11, 0x2ec0, v18
	v_add3_u32 v19, 0, v12, v4
	v_add_u32_e32 v69, 0x4e00, v18
	ds_read2_b64 v[10:13], v11 offset0:4 offset1:254
	ds_read2_b64 v[14:17], v14 offset1:250
	ds_read2_b64 v[22:25], v69 offset0:4 offset1:254
	s_waitcnt lgkmcnt(3)
	v_mov_b32_e32 v28, v27
	v_add_u32_e32 v70, 0x6d40, v18
	v_add_u32_e32 v71, 0x5dc0, v18
	v_lshlrev_b32_e32 v21, 2, v1
	v_lshlrev_b32_e32 v97, 2, v95
	s_movk_i32 s4, 0x7ff8
	v_lshlrev_b32_e32 v96, 2, v94
	v_lshlrev_b32_e32 v98, 2, v39
	v_and_b32_e32 v74, 7, v39
	v_and_b32_e32 v75, 7, v1
	s_waitcnt vmcnt(1)
	v_pk_mul_f32 v[28:29], v[28:29], v[6:7] op_sel_hi:[0,1]
	s_waitcnt lgkmcnt(2)
	v_pk_mul_f32 v[30:31], v[12:13], v[6:7] op_sel:[0,1]
	v_mov_b32_e32 v36, v9
	v_pk_fma_f32 v[42:43], v[6:7], v[26:27], v[28:29] op_sel:[0,0,1] op_sel_hi:[1,1,0] neg_lo:[0,0,1] neg_hi:[0,0,1]
	v_pk_fma_f32 v[26:27], v[6:7], v[26:27], v[28:29] op_sel:[0,0,1] op_sel_hi:[1,0,0]
	v_pk_fma_f32 v[28:29], v[12:13], v[6:7], v[30:31] op_sel:[0,0,1] op_sel_hi:[1,1,0] neg_lo:[0,0,1] neg_hi:[0,0,1]
	v_pk_fma_f32 v[30:31], v[12:13], v[6:7], v[30:31] op_sel:[0,0,1] op_sel_hi:[1,0,0]
	s_waitcnt lgkmcnt(0)
	v_pk_mul_f32 v[12:13], v[22:23], v[36:37] op_sel_hi:[1,0]
	v_pk_mul_f32 v[32:33], v[10:11], v[6:7] op_sel:[0,1]
	v_pk_fma_f32 v[48:49], v[22:23], v[8:9], v[12:13] op_sel:[0,0,1] op_sel_hi:[1,1,0] neg_lo:[0,0,1] neg_hi:[0,0,1]
	v_pk_fma_f32 v[22:23], v[22:23], v[8:9], v[12:13] op_sel:[0,0,1] op_sel_hi:[1,0,0]
	ds_read_b64 v[50:51], v20
	ds_read_b64 v[12:13], v5
	v_pk_mul_f32 v[34:35], v[8:9], v[14:15] op_sel:[0,1]
	v_pk_fma_f32 v[44:45], v[10:11], v[6:7], v[32:33] op_sel:[0,0,1] op_sel_hi:[1,1,0] neg_lo:[0,0,1] neg_hi:[0,0,1]
	v_pk_fma_f32 v[32:33], v[10:11], v[6:7], v[32:33] op_sel:[0,0,1] op_sel_hi:[1,0,0]
	v_pk_mul_f32 v[10:11], v[24:25], v[36:37] op_sel_hi:[1,0]
	v_pk_fma_f32 v[46:47], v[8:9], v[14:15], v[34:35] op_sel:[0,0,1] op_sel_hi:[1,1,0] neg_lo:[0,0,1] neg_hi:[0,0,1]
	v_pk_fma_f32 v[34:35], v[8:9], v[14:15], v[34:35] op_sel:[0,0,1] op_sel_hi:[1,0,0]
	v_pk_mul_f32 v[14:15], v[16:17], v[36:37] op_sel_hi:[1,0]
	v_pk_fma_f32 v[36:37], v[24:25], v[8:9], v[10:11] op_sel:[0,0,1] op_sel_hi:[1,1,0] neg_lo:[0,0,1] neg_hi:[0,0,1]
	v_pk_fma_f32 v[24:25], v[24:25], v[8:9], v[10:11] op_sel:[0,0,1] op_sel_hi:[1,0,0]
	v_pk_fma_f32 v[52:53], v[16:17], v[8:9], v[14:15] op_sel:[0,0,1] op_sel_hi:[1,1,0] neg_lo:[0,0,1] neg_hi:[0,0,1]
	v_pk_fma_f32 v[16:17], v[16:17], v[8:9], v[14:15] op_sel:[0,0,1] op_sel_hi:[1,0,0]
	ds_read2_b64 v[8:11], v70 offset0:4 offset1:254
	ds_read_b64 v[54:55], v19
	s_waitcnt lgkmcnt(2)
	v_pk_mul_f32 v[14:15], v[6:7], v[12:13] op_sel:[0,1]
	v_mov_b32_e32 v47, v35
	v_pk_fma_f32 v[56:57], v[6:7], v[12:13], v[14:15] op_sel:[0,0,1] op_sel_hi:[1,1,0] neg_lo:[0,0,1] neg_hi:[0,0,1]
	v_pk_fma_f32 v[6:7], v[6:7], v[12:13], v[14:15] op_sel:[0,0,1] op_sel_hi:[1,0,0]
	ds_read2_b64 v[12:15], v71 offset1:250
	s_waitcnt vmcnt(0) lgkmcnt(2)
	v_pk_mul_f32 v[58:59], v[10:11], v[2:3] op_sel:[0,1]
	v_mov_b32_e32 v43, v27
	v_pk_fma_f32 v[60:61], v[10:11], v[2:3], v[58:59] op_sel:[0,0,1] op_sel_hi:[1,1,0] neg_lo:[0,0,1] neg_hi:[0,0,1]
	v_pk_fma_f32 v[10:11], v[10:11], v[2:3], v[58:59] op_sel:[0,0,1] op_sel_hi:[1,0,0]
	v_pk_mul_f32 v[58:59], v[8:9], v[2:3] op_sel:[0,1]
	v_mov_b32_e32 v45, v33
	v_pk_fma_f32 v[62:63], v[8:9], v[2:3], v[58:59] op_sel:[0,0,1] op_sel_hi:[1,1,0] neg_lo:[0,0,1] neg_hi:[0,0,1]
	v_pk_fma_f32 v[8:9], v[8:9], v[2:3], v[58:59] op_sel:[0,0,1] op_sel_hi:[1,0,0]
	s_waitcnt lgkmcnt(0)
	v_pk_mul_f32 v[58:59], v[2:3], v[12:13] op_sel:[0,1]
	v_mov_b32_e32 v37, v25
	v_pk_fma_f32 v[64:65], v[2:3], v[12:13], v[58:59] op_sel:[0,0,1] op_sel_hi:[1,1,0] neg_lo:[0,0,1] neg_hi:[0,0,1]
	v_pk_fma_f32 v[12:13], v[2:3], v[12:13], v[58:59] op_sel:[0,0,1] op_sel_hi:[1,0,0]
	v_pk_mul_f32 v[58:59], v[14:15], v[2:3] op_sel:[0,1]
	v_mov_b32_e32 v65, v13
	v_pk_fma_f32 v[66:67], v[14:15], v[2:3], v[58:59] op_sel:[0,0,1] op_sel_hi:[1,1,0] neg_lo:[0,0,1] neg_hi:[0,0,1]
	v_pk_fma_f32 v[2:3], v[14:15], v[2:3], v[58:59] op_sel:[0,0,1] op_sel_hi:[1,0,0]
	ds_read_b64 v[12:13], v18
	v_mul_i32_i24_e32 v2, 0xc8, v94
	v_add3_u32 v72, 0, v2, v4
	v_and_or_b32 v2, v21, 56, v68
	v_mul_u32_u24_e32 v2, 0xc8, v2
	v_add3_u32 v58, 0, v2, v4
	v_and_or_b32 v2, v97, s4, v68
	v_mul_u32_u24_e32 v2, 0xc8, v2
	;; [unrolled: 3-line block ×3, first 2 shown]
	v_add3_u32 v73, 0, v2, v4
	v_and_or_b32 v2, v98, s4, v68
	v_mov_b32_e32 v61, v11
	ds_read_b64 v[10:11], v72
	v_mov_b32_e32 v63, v9
	v_mov_b32_e32 v57, v7
	v_mul_u32_u24_e32 v2, 0xc8, v2
	s_waitcnt lgkmcnt(1)
	v_pk_add_f32 v[6:7], v[12:13], v[46:47] neg_lo:[0,1] neg_hi:[0,1]
	v_mov_b32_e32 v67, v3
	v_mov_b32_e32 v29, v31
	v_add3_u32 v68, 0, v2, v4
	v_pk_fma_f32 v[8:9], v[12:13], 2.0, v[6:7] op_sel_hi:[1,0,1] neg_lo:[0,0,1] neg_hi:[0,0,1]
	v_pk_add_f32 v[12:13], v[54:55], v[36:37] neg_lo:[0,1] neg_hi:[0,1]
	v_pk_add_f32 v[2:3], v[56:57], v[64:65] neg_lo:[0,1] neg_hi:[0,1]
	;; [unrolled: 1-line block ×4, first 2 shown]
	v_mov_b32_e32 v53, v17
	v_pk_fma_f32 v[16:17], v[56:57], 2.0, v[2:3] op_sel_hi:[1,0,1] neg_lo:[0,0,1] neg_hi:[0,0,1]
	v_pk_fma_f32 v[32:33], v[42:43], 2.0, v[30:31] op_sel_hi:[1,0,1] neg_lo:[0,0,1] neg_hi:[0,0,1]
	;; [unrolled: 1-line block ×3, first 2 shown]
	v_pk_add_f32 v[44:45], v[6:7], v[2:3] op_sel:[0,1] op_sel_hi:[1,0] neg_lo:[0,1] neg_hi:[0,1]
	v_pk_add_f32 v[2:3], v[6:7], v[2:3] op_sel:[0,1] op_sel_hi:[1,0]
	v_pk_add_f32 v[16:17], v[8:9], v[16:17] neg_lo:[0,1] neg_hi:[0,1]
	v_mov_b32_e32 v45, v3
	v_pk_fma_f32 v[8:9], v[8:9], 2.0, v[16:17] op_sel_hi:[1,0,1] neg_lo:[0,0,1] neg_hi:[0,0,1]
	v_pk_add_f32 v[24:25], v[50:51], v[52:53] neg_lo:[0,1] neg_hi:[0,1]
	v_pk_fma_f32 v[2:3], v[6:7], 2.0, v[44:45] op_sel_hi:[1,0,1] neg_lo:[0,0,1] neg_hi:[0,0,1]
	v_pk_fma_f32 v[26:27], v[50:51], 2.0, v[24:25] op_sel_hi:[1,0,1] neg_lo:[0,0,1] neg_hi:[0,0,1]
	s_waitcnt lgkmcnt(0)
	s_barrier
	ds_write2_b64 v58, v[8:9], v[2:3] offset1:50
	ds_write2_b64 v58, v[16:17], v[44:45] offset0:100 offset1:150
	v_pk_add_f32 v[2:3], v[24:25], v[30:31] op_sel:[0,1] op_sel_hi:[1,0] neg_lo:[0,1] neg_hi:[0,1]
	v_pk_add_f32 v[6:7], v[24:25], v[30:31] op_sel:[0,1] op_sel_hi:[1,0]
	v_mov_b32_e32 v49, v23
	v_pk_add_f32 v[32:33], v[26:27], v[32:33] neg_lo:[0,1] neg_hi:[0,1]
	v_mov_b32_e32 v3, v7
	v_pk_add_f32 v[22:23], v[10:11], v[48:49] neg_lo:[0,1] neg_hi:[0,1]
	v_pk_fma_f32 v[26:27], v[26:27], 2.0, v[32:33] op_sel_hi:[1,0,1] neg_lo:[0,0,1] neg_hi:[0,0,1]
	v_pk_fma_f32 v[6:7], v[24:25], 2.0, v[2:3] op_sel_hi:[1,0,1] neg_lo:[0,0,1] neg_hi:[0,0,1]
	;; [unrolled: 1-line block ×3, first 2 shown]
	ds_write2_b64 v59, v[26:27], v[6:7] offset1:50
	ds_write2_b64 v59, v[32:33], v[2:3] offset0:100 offset1:150
	v_pk_add_f32 v[2:3], v[22:23], v[36:37] op_sel:[0,1] op_sel_hi:[1,0] neg_lo:[0,1] neg_hi:[0,1]
	v_pk_add_f32 v[6:7], v[22:23], v[36:37] op_sel:[0,1] op_sel_hi:[1,0]
	v_pk_add_f32 v[42:43], v[10:11], v[42:43] neg_lo:[0,1] neg_hi:[0,1]
	v_mov_b32_e32 v3, v7
	v_pk_add_f32 v[34:35], v[28:29], v[60:61] neg_lo:[0,1] neg_hi:[0,1]
	v_pk_fma_f32 v[10:11], v[10:11], 2.0, v[42:43] op_sel_hi:[1,0,1] neg_lo:[0,0,1] neg_hi:[0,0,1]
	v_pk_fma_f32 v[6:7], v[22:23], 2.0, v[2:3] op_sel_hi:[1,0,1] neg_lo:[0,0,1] neg_hi:[0,0,1]
	;; [unrolled: 1-line block ×4, first 2 shown]
	ds_write2_b64 v73, v[10:11], v[6:7] offset1:50
	ds_write2_b64 v73, v[42:43], v[2:3] offset0:100 offset1:150
	v_pk_add_f32 v[2:3], v[12:13], v[34:35] op_sel:[0,1] op_sel_hi:[1,0] neg_lo:[0,1] neg_hi:[0,1]
	v_pk_add_f32 v[6:7], v[12:13], v[34:35] op_sel:[0,1] op_sel_hi:[1,0]
	v_pk_add_f32 v[28:29], v[14:15], v[28:29] neg_lo:[0,1] neg_hi:[0,1]
	v_mov_b32_e32 v3, v7
	v_pk_fma_f32 v[14:15], v[14:15], 2.0, v[28:29] op_sel_hi:[1,0,1] neg_lo:[0,0,1] neg_hi:[0,0,1]
	v_pk_fma_f32 v[6:7], v[12:13], 2.0, v[2:3] op_sel_hi:[1,0,1] neg_lo:[0,0,1] neg_hi:[0,0,1]
	ds_write2_b64 v68, v[14:15], v[6:7] offset1:50
	ds_write2_b64 v68, v[28:29], v[2:3] offset0:100 offset1:150
	v_mul_u32_u24_e32 v2, 3, v74
	v_and_b32_e32 v73, 7, v94
	v_lshlrev_b32_e32 v22, 3, v2
	s_waitcnt lgkmcnt(0)
	s_barrier
	global_load_dwordx2 v[2:3], v22, s[16:17] offset:64
	v_mul_u32_u24_e32 v6, 3, v73
	v_lshlrev_b32_e32 v23, 3, v6
	global_load_dwordx2 v[42:43], v23, s[16:17] offset:64
	v_and_b32_e32 v68, 7, v95
	v_mul_u32_u24_e32 v6, 3, v68
	v_lshlrev_b32_e32 v26, 3, v6
	global_load_dwordx4 v[6:9], v26, s[16:17] offset:48
	global_load_dwordx4 v[10:13], v23, s[16:17] offset:48
	;; [unrolled: 1-line block ×3, first 2 shown]
	v_mul_u32_u24_e32 v22, 3, v75
	v_lshlrev_b32_e32 v27, 3, v22
	global_load_dwordx4 v[22:25], v27, s[16:17] offset:48
	global_load_dwordx2 v[44:45], v26, s[16:17] offset:64
	global_load_dwordx2 v[46:47], v27, s[16:17] offset:64
	v_add_u32_e32 v30, 0x2700, v18
	ds_read2_b64 v[26:29], v70 offset0:4 offset1:254
	ds_read2_b64 v[30:33], v30 offset0:2 offset1:252
	v_add_u32_e32 v34, 0x4400, v18
	ds_read2_b32 v[48:49], v34 offset0:148 offset1:149
	ds_read2_b64 v[34:37], v69 offset0:4 offset1:254
	v_add_u32_e32 v56, 0x36a0, v18
	ds_read_b64 v[58:59], v5
	v_and_or_b32 v5, v21, 32, v75
	v_mul_u32_u24_e32 v5, 0xc8, v5
	s_movk_i32 s4, 0x7fe0
	s_waitcnt vmcnt(7) lgkmcnt(4)
	v_pk_mul_f32 v[50:51], v[28:29], v[2:3] op_sel:[0,1]
	s_nop 0
	v_pk_fma_f32 v[52:53], v[28:29], v[2:3], v[50:51] op_sel:[1,0,0] op_sel_hi:[0,1,1]
	v_pk_fma_f32 v[2:3], v[28:29], v[2:3], v[50:51] op_sel:[1,0,0] op_sel_hi:[0,0,1] neg_lo:[0,0,1] neg_hi:[0,0,1]
	s_waitcnt vmcnt(6)
	v_pk_mul_f32 v[28:29], v[26:27], v[42:43] op_sel:[0,1]
	s_waitcnt lgkmcnt(2)
	v_mov_b32_e32 v2, v49
	v_pk_fma_f32 v[50:51], v[26:27], v[42:43], v[28:29] op_sel:[0,0,1] op_sel_hi:[1,1,0] neg_lo:[0,0,1] neg_hi:[0,0,1]
	v_pk_fma_f32 v[26:27], v[26:27], v[42:43], v[28:29] op_sel:[0,0,1] op_sel_hi:[1,0,0]
	s_waitcnt vmcnt(5)
	v_pk_mul_f32 v[28:29], v[6:7], v[30:31] op_sel:[0,1]
	v_pk_mul_f32 v[42:43], v[2:3], v[8:9] op_sel_hi:[0,1]
	v_pk_fma_f32 v[54:55], v[8:9], v[48:49], v[42:43] op_sel:[0,0,1] op_sel_hi:[1,1,0] neg_lo:[0,0,1] neg_hi:[0,0,1]
	v_pk_fma_f32 v[42:43], v[8:9], v[48:49], v[42:43] op_sel:[0,0,1] op_sel_hi:[1,0,0]
	v_pk_fma_f32 v[48:49], v[6:7], v[30:31], v[28:29] op_sel:[0,0,1] op_sel_hi:[1,1,0] neg_lo:[0,0,1] neg_hi:[0,0,1]
	v_pk_fma_f32 v[28:29], v[6:7], v[30:31], v[28:29] op_sel:[0,0,1] op_sel_hi:[1,0,0]
	s_waitcnt vmcnt(4)
	v_pk_mul_f32 v[6:7], v[32:33], v[10:11] op_sel:[0,1]
	v_mov_b32_e32 v2, v13
	v_pk_fma_f32 v[30:31], v[32:33], v[10:11], v[6:7] op_sel:[0,0,1] op_sel_hi:[1,1,0] neg_lo:[0,0,1] neg_hi:[0,0,1]
	v_pk_fma_f32 v[10:11], v[32:33], v[10:11], v[6:7] op_sel:[0,0,1] op_sel_hi:[1,0,0]
	s_waitcnt lgkmcnt(1)
	v_pk_mul_f32 v[6:7], v[34:35], v[2:3] op_sel_hi:[1,0]
	s_waitcnt vmcnt(3)
	v_mov_b32_e32 v2, v17
	v_pk_fma_f32 v[32:33], v[34:35], v[12:13], v[6:7] op_sel:[0,0,1] op_sel_hi:[1,1,0] neg_lo:[0,0,1] neg_hi:[0,0,1]
	v_pk_fma_f32 v[12:13], v[34:35], v[12:13], v[6:7] op_sel:[0,0,1] op_sel_hi:[1,0,0]
	ds_read2_b64 v[6:9], v56 offset0:2 offset1:252
	v_pk_mul_f32 v[34:35], v[36:37], v[2:3] op_sel_hi:[1,0]
	s_waitcnt vmcnt(2) lgkmcnt(1)
	v_pk_mul_f32 v[64:65], v[22:23], v[58:59] op_sel:[0,1]
	v_pk_fma_f32 v[56:57], v[36:37], v[16:17], v[34:35] op_sel:[0,0,1] op_sel_hi:[1,1,0] neg_lo:[0,0,1] neg_hi:[0,0,1]
	v_pk_fma_f32 v[16:17], v[36:37], v[16:17], v[34:35] op_sel:[0,0,1] op_sel_hi:[1,0,0]
	s_waitcnt lgkmcnt(0)
	v_pk_mul_f32 v[34:35], v[6:7], v[14:15] op_sel:[0,1]
	v_mov_b32_e32 v53, v3
	v_pk_fma_f32 v[36:37], v[6:7], v[14:15], v[34:35] op_sel:[1,0,0] op_sel_hi:[0,1,1]
	v_pk_fma_f32 v[14:15], v[6:7], v[14:15], v[34:35] op_sel:[1,0,0] op_sel_hi:[0,0,1] neg_lo:[0,0,1] neg_hi:[0,0,1]
	v_pk_mul_f32 v[6:7], v[24:25], v[8:9] op_sel:[0,1]
	v_pk_fma_f32 v[66:67], v[22:23], v[58:59], v[64:65] op_sel:[0,0,1] op_sel_hi:[1,1,0] neg_lo:[0,0,1] neg_hi:[0,0,1]
	v_pk_fma_f32 v[34:35], v[24:25], v[8:9], v[6:7] op_sel:[0,0,1] op_sel_hi:[1,1,0] neg_lo:[0,0,1] neg_hi:[0,0,1]
	v_pk_fma_f32 v[24:25], v[24:25], v[8:9], v[6:7] op_sel:[0,0,1] op_sel_hi:[1,0,0]
	ds_read_b64 v[60:61], v20
	ds_read2_b64 v[6:9], v71 offset1:250
	ds_read_b64 v[62:63], v19
	ds_read_b64 v[2:3], v18
	v_pk_fma_f32 v[22:23], v[22:23], v[58:59], v[64:65] op_sel:[0,0,1] op_sel_hi:[1,0,0]
	v_mov_b32_e32 v31, v11
	ds_read_b64 v[10:11], v72
	s_waitcnt vmcnt(1) lgkmcnt(3)
	v_pk_mul_f32 v[58:59], v[8:9], v[44:45] op_sel:[0,1]
	v_mov_b32_e32 v67, v23
	v_pk_fma_f32 v[64:65], v[8:9], v[44:45], v[58:59] op_sel:[0,0,1] op_sel_hi:[1,1,0] neg_lo:[0,0,1] neg_hi:[0,0,1]
	v_pk_fma_f32 v[8:9], v[8:9], v[44:45], v[58:59] op_sel:[0,0,1] op_sel_hi:[1,0,0]
	s_waitcnt vmcnt(0)
	v_pk_mul_f32 v[44:45], v[46:47], v[6:7] op_sel:[0,1]
	v_mov_b32_e32 v35, v25
	v_pk_fma_f32 v[58:59], v[46:47], v[6:7], v[44:45] op_sel:[0,0,1] op_sel_hi:[1,1,0] neg_lo:[0,0,1] neg_hi:[0,0,1]
	v_pk_fma_f32 v[6:7], v[46:47], v[6:7], v[44:45] op_sel:[0,0,1] op_sel_hi:[1,0,0]
	v_mov_b32_e32 v37, v15
	v_mov_b32_e32 v59, v7
	;; [unrolled: 1-line block ×3, first 2 shown]
	s_waitcnt lgkmcnt(1)
	v_pk_add_f32 v[6:7], v[2:3], v[34:35] neg_lo:[0,1] neg_hi:[0,1]
	v_pk_add_f32 v[22:23], v[66:67], v[58:59] neg_lo:[0,1] neg_hi:[0,1]
	v_mov_b32_e32 v33, v13
	v_pk_add_f32 v[12:13], v[62:63], v[56:57] neg_lo:[0,1] neg_hi:[0,1]
	v_pk_add_f32 v[14:15], v[36:37], v[52:53] neg_lo:[0,1] neg_hi:[0,1]
	v_pk_fma_f32 v[2:3], v[2:3], 2.0, v[6:7] op_sel_hi:[1,0,1] neg_lo:[0,0,1] neg_hi:[0,0,1]
	v_pk_fma_f32 v[24:25], v[66:67], 2.0, v[22:23] op_sel_hi:[1,0,1] neg_lo:[0,0,1] neg_hi:[0,0,1]
	v_pk_add_f32 v[34:35], v[6:7], v[22:23] op_sel:[0,1] op_sel_hi:[1,0] neg_lo:[0,1] neg_hi:[0,1]
	v_pk_add_f32 v[22:23], v[6:7], v[22:23] op_sel:[0,1] op_sel_hi:[1,0]
	v_pk_add_f32 v[44:45], v[12:13], v[14:15]
	v_pk_add_f32 v[24:25], v[2:3], v[24:25] neg_lo:[0,1] neg_hi:[0,1]
	v_mov_b32_e32 v35, v23
	v_mov_b32_e32 v51, v27
	;; [unrolled: 1-line block ×5, first 2 shown]
	v_add3_u32 v44, 0, v5, v4
	v_pk_fma_f32 v[2:3], v[2:3], 2.0, v[24:25] op_sel_hi:[1,0,1] neg_lo:[0,0,1] neg_hi:[0,0,1]
	v_pk_fma_f32 v[6:7], v[6:7], 2.0, v[34:35] op_sel_hi:[1,0,1] neg_lo:[0,0,1] neg_hi:[0,0,1]
	v_pk_add_f32 v[42:43], v[12:13], v[14:15] neg_lo:[0,1] neg_hi:[0,1]
	v_pk_fma_f32 v[8:9], v[36:37], 2.0, v[14:15] op_sel_hi:[1,0,1] neg_lo:[0,0,1] neg_hi:[0,0,1]
	s_waitcnt lgkmcnt(0)
	v_pk_add_f32 v[14:15], v[10:11], v[32:33] neg_lo:[0,1] neg_hi:[0,1]
	v_pk_add_f32 v[16:17], v[30:31], v[50:51] neg_lo:[0,1] neg_hi:[0,1]
	;; [unrolled: 1-line block ×4, first 2 shown]
	s_barrier
	ds_write2_b64 v44, v[2:3], v[6:7] offset1:200
	v_add_u32_e32 v2, 0xc00, v44
	v_and_or_b32 v5, v97, s4, v68
	v_pk_fma_f32 v[26:27], v[30:31], 2.0, v[16:17] op_sel_hi:[1,0,1] neg_lo:[0,0,1] neg_hi:[0,0,1]
	v_pk_fma_f32 v[30:31], v[60:61], 2.0, v[28:29] op_sel_hi:[1,0,1] neg_lo:[0,0,1] neg_hi:[0,0,1]
	;; [unrolled: 1-line block ×3, first 2 shown]
	ds_write2_b64 v2, v[24:25], v[34:35] offset0:16 offset1:216
	v_pk_add_f32 v[2:3], v[28:29], v[32:33] op_sel:[0,1] op_sel_hi:[1,0] neg_lo:[0,1] neg_hi:[0,1]
	v_pk_add_f32 v[6:7], v[28:29], v[32:33] op_sel:[0,1] op_sel_hi:[1,0]
	v_mul_u32_u24_e32 v5, 0xc8, v5
	v_pk_add_f32 v[36:37], v[30:31], v[36:37] neg_lo:[0,1] neg_hi:[0,1]
	v_mov_b32_e32 v3, v7
	v_add3_u32 v46, 0, v5, v4
	v_and_or_b32 v5, v96, s4, v73
	v_pk_fma_f32 v[30:31], v[30:31], 2.0, v[36:37] op_sel_hi:[1,0,1] neg_lo:[0,0,1] neg_hi:[0,0,1]
	v_pk_fma_f32 v[6:7], v[28:29], 2.0, v[2:3] op_sel_hi:[1,0,1] neg_lo:[0,0,1] neg_hi:[0,0,1]
	v_mul_u32_u24_e32 v5, 0xc8, v5
	ds_write2_b64 v46, v[30:31], v[6:7] offset1:200
	v_add_u32_e32 v6, 0xc00, v46
	v_add3_u32 v47, 0, v5, v4
	v_and_or_b32 v5, v98, s4, v74
	v_pk_fma_f32 v[10:11], v[10:11], 2.0, v[14:15] op_sel_hi:[1,0,1] neg_lo:[0,0,1] neg_hi:[0,0,1]
	ds_write2_b64 v6, v[36:37], v[2:3] offset0:16 offset1:216
	v_pk_add_f32 v[2:3], v[14:15], v[16:17] op_sel:[0,1] op_sel_hi:[1,0] neg_lo:[0,1] neg_hi:[0,1]
	v_pk_add_f32 v[6:7], v[14:15], v[16:17] op_sel:[0,1] op_sel_hi:[1,0]
	v_mul_u32_u24_e32 v5, 0xc8, v5
	v_pk_add_f32 v[26:27], v[10:11], v[26:27] neg_lo:[0,1] neg_hi:[0,1]
	v_mov_b32_e32 v3, v7
	v_add3_u32 v52, 0, v5, v4
	v_pk_fma_f32 v[4:5], v[62:63], 2.0, v[12:13] op_sel_hi:[1,0,1] neg_lo:[0,0,1] neg_hi:[0,0,1]
	v_pk_fma_f32 v[10:11], v[10:11], 2.0, v[26:27] op_sel_hi:[1,0,1] neg_lo:[0,0,1] neg_hi:[0,0,1]
	;; [unrolled: 1-line block ×3, first 2 shown]
	v_mov_b32_e32 v43, v45
	v_pk_add_f32 v[8:9], v[4:5], v[8:9] op_sel:[0,1] op_sel_hi:[1,0] neg_lo:[0,1] neg_hi:[0,1]
	ds_write2_b64 v47, v[10:11], v[6:7] offset1:200
	v_add_u32_e32 v6, 0xc00, v47
	v_pk_fma_f32 v[4:5], v[4:5], 2.0, v[8:9] op_sel_hi:[1,0,1] neg_lo:[0,0,1] neg_hi:[0,0,1]
	ds_write2_b64 v6, v[26:27], v[2:3] offset0:16 offset1:216
	v_pk_fma_f32 v[2:3], v[12:13], 2.0, v[42:43] op_sel_hi:[1,0,1] neg_lo:[0,0,1] neg_hi:[0,0,1]
	ds_write2_b64 v52, v[4:5], v[2:3] offset1:200
	v_add_u32_e32 v2, 0xc00, v52
	ds_write2_b64 v2, v[8:9], v[42:43] offset0:16 offset1:216
	v_add_u32_e32 v2, 0x1900, v18
	s_waitcnt lgkmcnt(0)
	s_barrier
	ds_read2_b64 v[10:13], v2 offset1:250
	v_add_u32_e32 v2, 0x3200, v18
	ds_read2_b64 v[14:17], v2 offset1:250
	v_add_u32_e32 v2, 0x4b00, v18
	v_add_u32_e32 v6, 0x6400, v18
	ds_read2_b64 v[2:5], v2 offset1:250
	ds_read2_b64 v[6:9], v6 offset1:250
	ds_read_b64 v[58:59], v18
	ds_read_b64 v[66:67], v18 offset:10400
	ds_read_b64 v[64:65], v18 offset:16800
	;; [unrolled: 1-line block ×3, first 2 shown]
	ds_read_b64 v[54:55], v72
	ds_read_b64 v[56:57], v20
	ds_read_b64 v[62:63], v18 offset:29600
	v_cmp_gt_u32_e64 s[4:5], 50, v0
                                        ; implicit-def: $vgpr46
                                        ; implicit-def: $vgpr48
                                        ; implicit-def: $vgpr50
                                        ; implicit-def: $vgpr52
	s_and_saveexec_b64 s[18:19], s[4:5]
	s_cbranch_execz .LBB0_16
; %bb.15:
	ds_read_b64 v[42:43], v19
	ds_read_b64 v[52:53], v18 offset:12400
	ds_read_b64 v[50:51], v18 offset:18800
	;; [unrolled: 1-line block ×4, first 2 shown]
	s_waitcnt lgkmcnt(4)
	v_mov_b32_e32 v45, v43
.LBB0_16:
	s_or_b64 exec, exec, s[18:19]
	v_and_b32_e32 v18, 60, v21
	v_lshlrev_b32_e32 v34, 3, v18
	global_load_dwordx4 v[18:21], v34, s[16:17] offset:240
	v_and_b32_e32 v22, 0x7c, v97
	v_lshlrev_b32_e32 v35, 3, v22
	global_load_dwordx4 v[26:29], v35, s[16:17] offset:240
	global_load_dwordx4 v[22:25], v34, s[16:17] offset:256
	;; [unrolled: 1-line block ×3, first 2 shown]
	v_and_b32_e32 v34, 0x7c, v96
	v_lshlrev_b32_e32 v43, 3, v34
	global_load_dwordx4 v[34:37], v43, s[16:17] offset:240
	global_load_dwordx4 v[68:71], v43, s[16:17] offset:256
	s_load_dwordx2 s[0:1], s[0:1], 0x8
	v_or_b32_e32 v44, 32, v1
	v_or_b32_e32 v72, 64, v1
	v_mov_b32_e32 v43, 3
	v_mul_lo_u32 v73, v40, v1
	v_or_b32_e32 v74, 0x60, v1
	v_or_b32_e32 v75, 0x80, v1
	v_mul_lo_u32 v44, v40, v44
	v_mul_lo_u32 v72, v40, v72
	v_lshlrev_b32_sdwa v84, v43, v73 dst_sel:DWORD dst_unused:UNUSED_PAD src0_sel:DWORD src1_sel:BYTE_0
	v_lshlrev_b32_sdwa v85, v43, v73 dst_sel:DWORD dst_unused:UNUSED_PAD src0_sel:DWORD src1_sel:BYTE_1
	v_mul_lo_u32 v73, v40, v74
	v_mul_lo_u32 v74, v40, v75
	v_lshlrev_b32_sdwa v86, v43, v44 dst_sel:DWORD dst_unused:UNUSED_PAD src0_sel:DWORD src1_sel:BYTE_0
	v_lshlrev_b32_sdwa v44, v43, v44 dst_sel:DWORD dst_unused:UNUSED_PAD src0_sel:DWORD src1_sel:BYTE_1
	v_lshlrev_b32_sdwa v87, v43, v72 dst_sel:DWORD dst_unused:UNUSED_PAD src0_sel:DWORD src1_sel:BYTE_0
	v_lshlrev_b32_sdwa v88, v43, v72 dst_sel:DWORD dst_unused:UNUSED_PAD src0_sel:DWORD src1_sel:BYTE_1
	;; [unrolled: 2-line block ×4, first 2 shown]
	s_waitcnt lgkmcnt(0)
	global_load_dwordx2 v[72:73], v44, s[0:1] offset:2048
	global_load_dwordx2 v[74:75], v87, s[0:1]
	global_load_dwordx2 v[76:77], v88, s[0:1] offset:2048
	global_load_dwordx2 v[78:79], v86, s[0:1]
	;; [unrolled: 2-line block ×3, first 2 shown]
	v_and_b32_e32 v99, 31, v95
	v_mul_lo_u32 v112, v40, v99
	v_lshlrev_b32_sdwa v117, v43, v112 dst_sel:DWORD dst_unused:UNUSED_PAD src0_sel:DWORD src1_sel:BYTE_0
	global_load_dwordx2 v[106:107], v114, s[0:1] offset:2048
	global_load_dwordx2 v[108:109], v113, s[0:1]
	global_load_dwordx2 v[110:111], v117, s[0:1]
	s_mov_b32 s22, 0x3f737871
	s_mov_b32 s20, 0x3f167918
	;; [unrolled: 1-line block ×3, first 2 shown]
	s_andn2_b64 vcc, exec, s[2:3]
	s_waitcnt vmcnt(14)
	v_pk_mul_f32 v[84:85], v[18:19], v[10:11] op_sel:[0,1]
	v_pk_mul_f32 v[86:87], v[20:21], v[14:15] op_sel:[0,1]
	v_pk_fma_f32 v[88:89], v[18:19], v[10:11], v[84:85] op_sel:[0,0,1] op_sel_hi:[1,1,0] neg_lo:[0,0,1] neg_hi:[0,0,1]
	v_pk_fma_f32 v[10:11], v[18:19], v[10:11], v[84:85] op_sel:[0,0,1] op_sel_hi:[1,0,0]
	v_pk_fma_f32 v[18:19], v[20:21], v[14:15], v[86:87] op_sel:[0,0,1] op_sel_hi:[1,1,0] neg_lo:[0,0,1] neg_hi:[0,0,1]
	v_pk_fma_f32 v[14:15], v[20:21], v[14:15], v[86:87] op_sel:[0,0,1] op_sel_hi:[1,0,0]
	s_waitcnt vmcnt(13)
	v_pk_mul_f32 v[20:21], v[26:27], v[12:13] op_sel:[0,1]
	v_mov_b32_e32 v89, v11
	v_pk_fma_f32 v[90:91], v[26:27], v[12:13], v[20:21] op_sel:[0,0,1] op_sel_hi:[1,1,0] neg_lo:[0,0,1] neg_hi:[0,0,1]
	v_pk_fma_f32 v[20:21], v[26:27], v[12:13], v[20:21] op_sel:[0,0,1] op_sel_hi:[1,0,0]
	v_pk_mul_f32 v[12:13], v[28:29], v[16:17] op_sel:[0,1]
	s_waitcnt vmcnt(12)
	v_pk_mul_f32 v[26:27], v[24:25], v[6:7] op_sel:[0,1]
	v_pk_fma_f32 v[92:93], v[28:29], v[16:17], v[12:13] op_sel:[0,0,1] op_sel_hi:[1,1,0] neg_lo:[0,0,1] neg_hi:[0,0,1]
	v_pk_fma_f32 v[16:17], v[28:29], v[16:17], v[12:13] op_sel:[0,0,1] op_sel_hi:[1,0,0]
	v_pk_mul_f32 v[12:13], v[22:23], v[2:3] op_sel:[0,1]
	v_pk_fma_f32 v[86:87], v[24:25], v[6:7], v[26:27] op_sel:[0,0,1] op_sel_hi:[1,1,0] neg_lo:[0,0,1] neg_hi:[0,0,1]
	v_pk_fma_f32 v[84:85], v[22:23], v[2:3], v[12:13] op_sel:[0,0,1] op_sel_hi:[1,1,0] neg_lo:[0,0,1] neg_hi:[0,0,1]
	v_pk_fma_f32 v[12:13], v[22:23], v[2:3], v[12:13] op_sel:[0,0,1] op_sel_hi:[1,0,0]
	s_waitcnt vmcnt(11)
	v_pk_mul_f32 v[2:3], v[30:31], v[4:5] op_sel:[0,1]
	v_pk_fma_f32 v[100:101], v[24:25], v[6:7], v[26:27] op_sel:[0,0,1] op_sel_hi:[1,0,0]
	v_pk_fma_f32 v[102:103], v[30:31], v[4:5], v[2:3] op_sel:[0,0,1] op_sel_hi:[1,1,0] neg_lo:[0,0,1] neg_hi:[0,0,1]
	v_pk_fma_f32 v[30:31], v[30:31], v[4:5], v[2:3] op_sel:[0,0,1] op_sel_hi:[1,0,0]
	v_pk_mul_f32 v[2:3], v[32:33], v[8:9] op_sel:[0,1]
	s_waitcnt vmcnt(10)
	v_mov_b32_e32 v4, v37
	v_pk_fma_f32 v[104:105], v[32:33], v[8:9], v[2:3] op_sel:[0,0,1] op_sel_hi:[1,1,0] neg_lo:[0,0,1] neg_hi:[0,0,1]
	v_pk_fma_f32 v[32:33], v[32:33], v[8:9], v[2:3] op_sel:[0,0,1] op_sel_hi:[1,0,0]
	v_pk_mul_f32 v[2:3], v[66:67], v[34:35] op_sel:[0,1]
	v_pk_mul_f32 v[4:5], v[64:65], v[4:5] op_sel_hi:[1,0]
	v_pk_fma_f32 v[22:23], v[66:67], v[34:35], v[2:3] op_sel:[0,0,1] op_sel_hi:[1,1,0] neg_lo:[0,0,1] neg_hi:[0,0,1]
	v_pk_fma_f32 v[2:3], v[66:67], v[34:35], v[2:3] op_sel:[0,0,1] op_sel_hi:[1,0,0]
	v_pk_fma_f32 v[24:25], v[64:65], v[36:37], v[4:5] op_sel:[0,0,1] op_sel_hi:[1,1,0] neg_lo:[0,0,1] neg_hi:[0,0,1]
	v_pk_fma_f32 v[4:5], v[64:65], v[36:37], v[4:5] op_sel:[0,0,1] op_sel_hi:[1,0,0]
	global_load_dwordx2 v[34:35], v116, s[0:1] offset:2048
	global_load_dwordx2 v[36:37], v115, s[0:1]
	s_waitcnt vmcnt(11)
	v_mov_b32_e32 v2, v71
	v_pk_mul_f32 v[8:9], v[62:63], v[2:3] op_sel_hi:[1,0]
	v_lshlrev_b32_sdwa v2, v43, v112 dst_sel:DWORD dst_unused:UNUSED_PAD src0_sel:DWORD src1_sel:BYTE_1
	global_load_dwordx2 v[112:113], v2, s[0:1] offset:2048
	v_pk_mul_f32 v[6:7], v[60:61], v[68:69] op_sel:[0,1]
	s_waitcnt vmcnt(8)
	v_mul_f32_e32 v2, v79, v73
	v_pk_fma_f32 v[26:27], v[60:61], v[68:69], v[6:7] op_sel:[0,0,1] op_sel_hi:[1,1,0] neg_lo:[0,0,1] neg_hi:[0,0,1]
	v_pk_fma_f32 v[6:7], v[60:61], v[68:69], v[6:7] op_sel:[0,0,1] op_sel_hi:[1,0,0]
	v_pk_fma_f32 v[28:29], v[62:63], v[70:71], v[8:9] op_sel:[0,0,1] op_sel_hi:[1,1,0] neg_lo:[0,0,1] neg_hi:[0,0,1]
	v_fma_f32 v6, v78, v72, -v2
	v_mul_f32_e32 v2, v75, v77
	v_pk_fma_f32 v[8:9], v[62:63], v[70:71], v[8:9] op_sel:[0,0,1] op_sel_hi:[1,0,0]
	v_fma_f32 v44, v74, v76, -v2
	s_waitcnt vmcnt(7)
	v_mov_b32_e32 v2, v81
	s_waitcnt vmcnt(6)
	v_pk_mul_f32 v[62:63], v[82:83], v[80:81] op_sel:[1,0] op_sel_hi:[0,1]
	v_pk_mul_f32 v[60:61], v[82:83], v[2:3] op_sel:[1,0] op_sel_hi:[0,1]
	v_mov_b32_e32 v2, v63
	v_pk_fma_f32 v[62:63], v[82:83], v[80:81], v[2:3] op_sel:[1,0,0] op_sel_hi:[0,1,1]
	s_waitcnt vmcnt(5)
	v_mov_b32_e32 v2, v107
	s_waitcnt vmcnt(4)
	v_pk_mul_f32 v[64:65], v[108:109], v[2:3] op_sel:[1,0] op_sel_hi:[0,1]
	v_pk_fma_f32 v[70:71], v[108:109], v[106:107], v[64:65] neg_lo:[0,0,1] neg_hi:[0,0,1]
	v_pk_mul_f32 v[64:65], v[108:109], v[106:107] op_sel:[1,0] op_sel_hi:[0,1]
	v_mul_f32_e32 v8, v78, v73
	v_mov_b32_e32 v2, v65
	v_mov_b32_e32 v19, v15
	v_pk_add_f32 v[10:11], v[58:59], v[88:89]
	v_fmac_f32_e32 v8, v79, v72
	v_pk_fma_f32 v[72:73], v[108:109], v[106:107], v[2:3] op_sel:[1,0,0] op_sel_hi:[0,1,1]
	v_mov_b32_e32 v85, v13
	v_pk_add_f32 v[10:11], v[10:11], v[18:19]
	v_mul_f32_e32 v114, v74, v77
	v_mov_b32_e32 v87, v101
	v_pk_add_f32 v[10:11], v[10:11], v[84:85]
	v_fmac_f32_e32 v114, v75, v76
	v_pk_add_f32 v[10:11], v[10:11], v[86:87]
	v_pk_fma_f32 v[60:61], v[82:83], v[80:81], v[60:61] neg_lo:[0,0,1] neg_hi:[0,0,1]
	v_pk_mul_f32 v[14:15], v[10:11], v[62:63] op_sel_hi:[1,0]
	v_pk_add_f32 v[68:69], v[88:89], v[86:87] neg_lo:[0,1] neg_hi:[0,1]
	v_pk_fma_f32 v[12:13], v[10:11], v[60:61], v[14:15] op_sel:[0,0,1] op_sel_hi:[1,1,0] neg_lo:[0,0,1] neg_hi:[0,0,1]
	v_mov_b32_e32 v91, v21
	v_or_b32_e32 v13, 64, v99
	v_mul_lo_u32 v13, v40, v13
	v_mov_b32_e32 v93, v17
	v_pk_add_f32 v[16:17], v[56:57], v[90:91]
	v_mov_b32_e32 v103, v31
	v_pk_add_f32 v[16:17], v[16:17], v[92:93]
	v_mov_b32_e32 v105, v33
	v_pk_add_f32 v[16:17], v[16:17], v[102:103]
	v_pk_add_f32 v[32:33], v[104:105], v[102:103] neg_lo:[0,1] neg_hi:[0,1]
	v_pk_add_f32 v[16:17], v[16:17], v[104:105]
	v_mov_b32_e32 v23, v3
	v_mov_b32_e32 v25, v5
	;; [unrolled: 1-line block ×4, first 2 shown]
	s_waitcnt vmcnt(2)
	v_mov_b32_e32 v2, v35
	s_waitcnt vmcnt(1)
	v_pk_mul_f32 v[64:65], v[36:37], v[2:3] op_sel:[1,0] op_sel_hi:[0,1]
	v_pk_fma_f32 v[74:75], v[36:37], v[34:35], v[64:65] neg_lo:[0,0,1] neg_hi:[0,0,1]
	v_pk_mul_f32 v[64:65], v[36:37], v[34:35] op_sel:[1,0] op_sel_hi:[0,1]
	v_mov_b32_e32 v2, v65
	v_pk_fma_f32 v[34:35], v[36:37], v[34:35], v[2:3] op_sel:[1,0,0] op_sel_hi:[0,1,1]
	v_pk_fma_f32 v[36:37], v[10:11], v[60:61], v[14:15] op_sel:[0,0,1] op_sel_hi:[1,0,0]
	v_pk_add_f32 v[10:11], v[18:19], v[88:89] neg_lo:[0,1] neg_hi:[0,1]
	v_pk_add_f32 v[14:15], v[84:85], v[86:87] neg_lo:[0,1] neg_hi:[0,1]
	;; [unrolled: 1-line block ×3, first 2 shown]
	v_pk_add_f32 v[10:11], v[10:11], v[14:15]
	v_pk_add_f32 v[14:15], v[88:89], v[86:87]
	v_pk_mul_f32 v[60:61], v[10:11], s[18:19] op_sel_hi:[1,0]
	v_pk_fma_f32 v[14:15], v[14:15], 0.5, v[58:59] op_sel_hi:[1,0,1] neg_lo:[1,0,0] neg_hi:[1,0,0]
	s_waitcnt vmcnt(0)
	v_mov_b32_e32 v2, v113
	v_pk_fma_f32 v[66:67], v[64:65], s[22:23], v[14:15] op_sel:[1,0,0] op_sel_hi:[0,0,1] neg_lo:[1,0,0] neg_hi:[1,0,0]
	v_pk_fma_f32 v[14:15], v[64:65], s[22:23], v[14:15] op_sel:[1,0,0] op_sel_hi:[0,0,1]
	v_pk_fma_f32 v[14:15], v[68:69], s[20:21], v[14:15] op_sel:[1,0,0] op_sel_hi:[0,0,1] neg_lo:[1,0,0] neg_hi:[1,0,0]
	v_pk_fma_f32 v[62:63], v[68:69], s[20:21], v[66:67] op_sel:[1,0,0] op_sel_hi:[0,0,1]
	v_add_f32_e32 v36, v61, v15
	v_mov_b32_e32 v15, v63
	v_pk_fma_f32 v[14:15], v[10:11], s[18:19], v[14:15] op_sel_hi:[1,0,1]
	s_nop 0
	v_pk_mul_f32 v[62:63], v[14:15], v[72:73] op_sel_hi:[1,0]
	s_nop 0
	v_pk_fma_f32 v[10:11], v[14:15], v[70:71], v[62:63] op_sel:[0,0,1] op_sel_hi:[1,1,0] neg_lo:[0,0,1] neg_hi:[0,0,1]
	v_pk_fma_f32 v[62:63], v[14:15], v[70:71], v[62:63] op_sel:[0,0,1] op_sel_hi:[1,0,0]
	v_pk_add_f32 v[14:15], v[18:19], v[84:85]
	v_pk_add_f32 v[18:19], v[88:89], v[18:19] neg_lo:[0,1] neg_hi:[0,1]
	v_pk_fma_f32 v[14:15], v[14:15], 0.5, v[58:59] op_sel_hi:[1,0,1] neg_lo:[1,0,0] neg_hi:[1,0,0]
	v_pk_add_f32 v[58:59], v[86:87], v[84:85] neg_lo:[0,1] neg_hi:[0,1]
	v_pk_fma_f32 v[72:73], v[68:69], s[22:23], v[14:15] op_sel:[1,0,0] op_sel_hi:[0,0,1]
	v_pk_add_f32 v[18:19], v[18:19], v[58:59]
	v_pk_fma_f32 v[14:15], v[68:69], s[22:23], v[14:15] op_sel:[1,0,0] op_sel_hi:[0,0,1] neg_lo:[1,0,0] neg_hi:[1,0,0]
	v_pk_fma_f32 v[14:15], v[64:65], s[20:21], v[14:15] op_sel:[1,0,0] op_sel_hi:[0,0,1] neg_lo:[1,0,0] neg_hi:[1,0,0]
	v_pk_mul_f32 v[70:71], v[18:19], s[18:19] op_sel_hi:[1,0]
	v_pk_fma_f32 v[58:59], v[64:65], s[20:21], v[72:73] op_sel:[1,0,0] op_sel_hi:[0,0,1]
	v_add_f32_e32 v11, v71, v15
	v_mov_b32_e32 v15, v59
	v_pk_fma_f32 v[18:19], v[18:19], s[18:19], v[14:15] op_sel_hi:[1,0,1]
	v_pk_add_f32 v[88:89], v[90:91], v[104:105] neg_lo:[0,1] neg_hi:[0,1]
	v_pk_mul_f32 v[34:35], v[18:19], v[34:35] op_sel_hi:[1,0]
	v_and_b32_e32 v68, 31, v39
	v_pk_fma_f32 v[14:15], v[18:19], v[74:75], v[34:35] op_sel:[0,0,1] op_sel_hi:[1,1,0] neg_lo:[0,0,1] neg_hi:[0,0,1]
	v_pk_fma_f32 v[58:59], v[18:19], v[74:75], v[34:35] op_sel:[0,0,1] op_sel_hi:[1,0,0]
	v_pk_mul_f32 v[34:35], v[110:111], v[112:113] op_sel:[1,0] op_sel_hi:[0,1]
	v_pk_mul_f32 v[18:19], v[110:111], v[2:3] op_sel:[1,0] op_sel_hi:[0,1]
	v_mov_b32_e32 v2, v35
	v_pk_fma_f32 v[34:35], v[110:111], v[112:113], v[2:3] op_sel:[1,0,0] op_sel_hi:[0,1,1]
	v_or_b32_e32 v2, 32, v99
	v_mul_lo_u32 v2, v40, v2
	v_lshlrev_b32_sdwa v4, v43, v2 dst_sel:DWORD dst_unused:UNUSED_PAD src0_sel:DWORD src1_sel:BYTE_0
	v_lshlrev_b32_sdwa v2, v43, v2 dst_sel:DWORD dst_unused:UNUSED_PAD src0_sel:DWORD src1_sel:BYTE_1
	global_load_dwordx2 v[74:75], v4, s[0:1]
	global_load_dwordx2 v[76:77], v2, s[0:1] offset:2048
	v_lshlrev_b32_sdwa v2, v43, v13 dst_sel:DWORD dst_unused:UNUSED_PAD src0_sel:DWORD src1_sel:BYTE_0
	v_lshlrev_b32_sdwa v4, v43, v13 dst_sel:DWORD dst_unused:UNUSED_PAD src0_sel:DWORD src1_sel:BYTE_1
	global_load_dwordx2 v[78:79], v2, s[0:1]
	global_load_dwordx2 v[80:81], v4, s[0:1] offset:2048
	v_or_b32_e32 v13, 0x80, v99
	v_mul_lo_u32 v13, v40, v13
	v_lshlrev_b32_sdwa v15, v43, v13 dst_sel:DWORD dst_unused:UNUSED_PAD src0_sel:DWORD src1_sel:BYTE_0
	v_pk_fma_f32 v[18:19], v[110:111], v[112:113], v[18:19] neg_lo:[0,0,1] neg_hi:[0,0,1]
	v_pk_mul_f32 v[30:31], v[16:17], v[34:35] op_sel_hi:[1,0]
	v_mul_f32_e32 v7, v11, v8
	v_pk_fma_f32 v[20:21], v[16:17], v[18:19], v[30:31] op_sel:[0,0,1] op_sel_hi:[1,1,0] neg_lo:[0,0,1] neg_hi:[0,0,1]
	s_waitcnt vmcnt(2)
	v_mul_f32_e32 v2, v75, v77
	v_fma_f32 v58, v74, v76, -v2
	v_mul_f32_e32 v61, v74, v77
	s_waitcnt vmcnt(0)
	v_mul_f32_e32 v2, v79, v81
	v_fma_f32 v62, v78, v80, -v2
	v_or_b32_e32 v2, 0x60, v99
	v_mul_f32_e32 v64, v78, v81
	v_mul_lo_u32 v2, v40, v2
	v_fmac_f32_e32 v61, v75, v76
	v_fmac_f32_e32 v64, v79, v80
	v_lshlrev_b32_sdwa v4, v43, v2 dst_sel:DWORD dst_unused:UNUSED_PAD src0_sel:DWORD src1_sel:BYTE_0
	v_lshlrev_b32_sdwa v2, v43, v2 dst_sel:DWORD dst_unused:UNUSED_PAD src0_sel:DWORD src1_sel:BYTE_1
	global_load_dwordx2 v[74:75], v15, s[0:1]
	global_load_dwordx2 v[76:77], v2, s[0:1] offset:2048
	global_load_dwordx2 v[78:79], v4, s[0:1]
	v_and_b32_e32 v4, 31, v94
	v_or_b32_e32 v15, 32, v4
	v_mul_lo_u32 v15, v40, v15
	s_waitcnt vmcnt(1)
	v_mov_b32_e32 v2, v77
	s_waitcnt vmcnt(0)
	v_pk_mul_f32 v[82:83], v[78:79], v[76:77] op_sel:[1,0] op_sel_hi:[0,1]
	v_pk_mul_f32 v[80:81], v[78:79], v[2:3] op_sel:[1,0] op_sel_hi:[0,1]
	v_mov_b32_e32 v2, v83
	v_pk_fma_f32 v[82:83], v[78:79], v[76:77], v[2:3] op_sel:[1,0,0] op_sel_hi:[0,1,1]
	v_lshlrev_b32_sdwa v2, v43, v13 dst_sel:DWORD dst_unused:UNUSED_PAD src0_sel:DWORD src1_sel:BYTE_1
	v_pk_fma_f32 v[80:81], v[78:79], v[76:77], v[80:81] neg_lo:[0,0,1] neg_hi:[0,0,1]
	global_load_dwordx2 v[76:77], v2, s[0:1] offset:2048
	s_waitcnt vmcnt(0)
	v_mov_b32_e32 v2, v77
	v_pk_mul_f32 v[78:79], v[74:75], v[2:3] op_sel:[1,0] op_sel_hi:[0,1]
	v_pk_fma_f32 v[100:101], v[74:75], v[76:77], v[78:79] neg_lo:[0,0,1] neg_hi:[0,0,1]
	v_pk_mul_f32 v[78:79], v[74:75], v[76:77] op_sel:[1,0] op_sel_hi:[0,1]
	v_mov_b32_e32 v2, v79
	v_pk_fma_f32 v[78:79], v[16:17], v[18:19], v[30:31] op_sel:[0,0,1] op_sel_hi:[1,0,0]
	v_pk_add_f32 v[16:17], v[92:93], v[90:91] neg_lo:[0,1] neg_hi:[0,1]
	v_pk_add_f32 v[18:19], v[102:103], v[104:105] neg_lo:[0,1] neg_hi:[0,1]
	v_pk_fma_f32 v[106:107], v[74:75], v[76:77], v[2:3] op_sel:[1,0,0] op_sel_hi:[0,1,1]
	v_pk_add_f32 v[16:17], v[16:17], v[18:19]
	v_pk_add_f32 v[18:19], v[90:91], v[104:105]
	v_pk_add_f32 v[74:75], v[92:93], v[102:103] neg_lo:[0,1] neg_hi:[0,1]
	v_pk_fma_f32 v[18:19], v[18:19], 0.5, v[56:57] op_sel_hi:[1,0,1] neg_lo:[1,0,0] neg_hi:[1,0,0]
	v_pk_mul_f32 v[84:85], v[16:17], s[18:19] op_sel_hi:[1,0]
	v_pk_fma_f32 v[76:77], v[74:75], s[22:23], v[18:19] op_sel:[1,0,0] op_sel_hi:[0,0,1] neg_lo:[1,0,0] neg_hi:[1,0,0]
	v_pk_fma_f32 v[18:19], v[74:75], s[22:23], v[18:19] op_sel:[1,0,0] op_sel_hi:[0,0,1]
	v_pk_fma_f32 v[18:19], v[88:89], s[20:21], v[18:19] op_sel:[1,0,0] op_sel_hi:[0,0,1] neg_lo:[1,0,0] neg_hi:[1,0,0]
	v_pk_fma_f32 v[30:31], v[88:89], s[20:21], v[76:77] op_sel:[1,0,0] op_sel_hi:[0,0,1]
	v_add_f32_e32 v67, v85, v19
	v_mov_b32_e32 v19, v31
	v_pk_fma_f32 v[18:19], v[16:17], s[18:19], v[18:19] op_sel_hi:[1,0,1]
	v_mul_lo_u32 v2, v40, v4
	v_pk_mul_f32 v[30:31], v[18:19], v[82:83] op_sel_hi:[1,0]
	v_lshlrev_b32_sdwa v13, v43, v2 dst_sel:DWORD dst_unused:UNUSED_PAD src0_sel:DWORD src1_sel:BYTE_0
	v_pk_fma_f32 v[16:17], v[18:19], v[80:81], v[30:31] op_sel:[0,0,1] op_sel_hi:[1,1,0] neg_lo:[0,0,1] neg_hi:[0,0,1]
	v_pk_fma_f32 v[86:87], v[18:19], v[80:81], v[30:31] op_sel:[0,0,1] op_sel_hi:[1,0,0]
	v_pk_add_f32 v[18:19], v[92:93], v[102:103]
	v_pk_add_f32 v[30:31], v[90:91], v[92:93] neg_lo:[0,1] neg_hi:[0,1]
	v_pk_fma_f32 v[18:19], v[18:19], 0.5, v[56:57] op_sel_hi:[1,0,1] neg_lo:[1,0,0] neg_hi:[1,0,0]
	v_pk_add_f32 v[30:31], v[30:31], v[32:33]
	v_pk_fma_f32 v[92:93], v[88:89], s[22:23], v[18:19] op_sel:[1,0,0] op_sel_hi:[0,0,1]
	v_pk_fma_f32 v[18:19], v[88:89], s[22:23], v[18:19] op_sel:[1,0,0] op_sel_hi:[0,0,1] neg_lo:[1,0,0] neg_hi:[1,0,0]
	v_pk_fma_f32 v[18:19], v[74:75], s[20:21], v[18:19] op_sel:[1,0,0] op_sel_hi:[0,0,1] neg_lo:[1,0,0] neg_hi:[1,0,0]
	v_pk_mul_f32 v[90:91], v[30:31], s[18:19] op_sel_hi:[1,0]
	v_pk_fma_f32 v[32:33], v[74:75], s[20:21], v[92:93] op_sel:[1,0,0] op_sel_hi:[0,0,1]
	v_add_f32_e32 v17, v91, v19
	v_mov_b32_e32 v19, v33
	v_pk_fma_f32 v[30:31], v[30:31], s[18:19], v[18:19] op_sel_hi:[1,0,1]
	v_lshlrev_b32_sdwa v2, v43, v2 dst_sel:DWORD dst_unused:UNUSED_PAD src0_sel:DWORD src1_sel:BYTE_1
	v_pk_mul_f32 v[32:33], v[30:31], v[106:107] op_sel_hi:[1,0]
	v_mov_b32_e32 v21, v79
	v_pk_fma_f32 v[18:19], v[30:31], v[100:101], v[32:33] op_sel:[0,0,1] op_sel_hi:[1,1,0] neg_lo:[0,0,1] neg_hi:[0,0,1]
	v_pk_fma_f32 v[56:57], v[30:31], v[100:101], v[32:33] op_sel:[0,0,1] op_sel_hi:[1,0,0]
	v_lshlrev_b32_sdwa v19, v43, v15 dst_sel:DWORD dst_unused:UNUSED_PAD src0_sel:DWORD src1_sel:BYTE_0
	v_lshlrev_b32_sdwa v15, v43, v15 dst_sel:DWORD dst_unused:UNUSED_PAD src0_sel:DWORD src1_sel:BYTE_1
	global_load_dwordx2 v[30:31], v19, s[0:1]
	global_load_dwordx2 v[32:33], v15, s[0:1] offset:2048
	global_load_dwordx2 v[34:35], v2, s[0:1] offset:2048
	global_load_dwordx2 v[80:81], v13, s[0:1]
	v_or_b32_e32 v15, 0x60, v4
	v_mul_lo_u32 v15, v40, v15
	v_mov_b32_e32 v19, v57
	s_waitcnt vmcnt(2)
	v_mul_f32_e32 v93, v30, v33
	s_waitcnt vmcnt(1)
	v_mov_b32_e32 v2, v35
	s_waitcnt vmcnt(0)
	v_pk_mul_f32 v[82:83], v[80:81], v[2:3] op_sel:[1,0] op_sel_hi:[0,1]
	v_pk_fma_f32 v[100:101], v[80:81], v[34:35], v[82:83] neg_lo:[0,0,1] neg_hi:[0,0,1]
	v_pk_mul_f32 v[82:83], v[80:81], v[34:35] op_sel:[1,0] op_sel_hi:[0,1]
	v_mov_b32_e32 v2, v83
	v_pk_fma_f32 v[34:35], v[80:81], v[34:35], v[2:3] op_sel:[1,0,0] op_sel_hi:[0,1,1]
	v_mul_f32_e32 v2, v31, v33
	v_fma_f32 v91, v30, v32, -v2
	v_or_b32_e32 v2, 64, v4
	v_mul_lo_u32 v2, v40, v2
	v_lshlrev_b32_sdwa v13, v43, v2 dst_sel:DWORD dst_unused:UNUSED_PAD src0_sel:DWORD src1_sel:BYTE_0
	v_fmac_f32_e32 v93, v31, v32
	v_lshlrev_b32_sdwa v2, v43, v2 dst_sel:DWORD dst_unused:UNUSED_PAD src0_sel:DWORD src1_sel:BYTE_1
	global_load_dwordx2 v[30:31], v13, s[0:1]
	global_load_dwordx2 v[32:33], v2, s[0:1] offset:2048
	v_lshlrev_b32_sdwa v2, v43, v15 dst_sel:DWORD dst_unused:UNUSED_PAD src0_sel:DWORD src1_sel:BYTE_0
	global_load_dwordx2 v[82:83], v2, s[0:1]
	v_mul_lo_u32 v13, v40, v68
	s_waitcnt vmcnt(1)
	v_mul_f32_e32 v2, v31, v33
	v_fma_f32 v99, v30, v32, -v2
	v_mul_f32_e32 v110, v30, v33
	v_lshlrev_b32_sdwa v2, v43, v15 dst_sel:DWORD dst_unused:UNUSED_PAD src0_sel:DWORD src1_sel:BYTE_1
	v_fmac_f32_e32 v110, v31, v32
	global_load_dwordx2 v[30:31], v2, s[0:1] offset:2048
	v_lshlrev_b32_sdwa v15, v43, v13 dst_sel:DWORD dst_unused:UNUSED_PAD src0_sel:DWORD src1_sel:BYTE_0
	v_lshlrev_b32_sdwa v13, v43, v13 dst_sel:DWORD dst_unused:UNUSED_PAD src0_sel:DWORD src1_sel:BYTE_1
	s_waitcnt vmcnt(0)
	v_mov_b32_e32 v2, v31
	v_pk_mul_f32 v[32:33], v[82:83], v[2:3] op_sel:[1,0] op_sel_hi:[0,1]
	v_pk_fma_f32 v[80:81], v[82:83], v[30:31], v[32:33] neg_lo:[0,0,1] neg_hi:[0,0,1]
	v_pk_mul_f32 v[32:33], v[82:83], v[30:31] op_sel:[1,0] op_sel_hi:[0,1]
	v_mov_b32_e32 v2, v33
	v_pk_fma_f32 v[82:83], v[82:83], v[30:31], v[2:3] op_sel:[1,0,0] op_sel_hi:[0,1,1]
	v_or_b32_e32 v2, 0x80, v4
	v_mul_lo_u32 v2, v40, v2
	v_lshlrev_b32_sdwa v4, v43, v2 dst_sel:DWORD dst_unused:UNUSED_PAD src0_sel:DWORD src1_sel:BYTE_0
	v_lshlrev_b32_sdwa v2, v43, v2 dst_sel:DWORD dst_unused:UNUSED_PAD src0_sel:DWORD src1_sel:BYTE_1
	global_load_dwordx2 v[30:31], v15, s[0:1]
	global_load_dwordx2 v[32:33], v13, s[0:1] offset:2048
	global_load_dwordx2 v[102:103], v2, s[0:1] offset:2048
	global_load_dwordx2 v[104:105], v4, s[0:1]
	v_mov_b32_e32 v13, v37
	v_mov_b32_e32 v15, v59
	s_waitcnt vmcnt(1)
	v_mov_b32_e32 v2, v103
	s_waitcnt vmcnt(0)
	v_pk_mul_f32 v[108:109], v[104:105], v[102:103] op_sel:[1,0] op_sel_hi:[0,1]
	v_pk_mul_f32 v[106:107], v[104:105], v[2:3] op_sel:[1,0] op_sel_hi:[0,1]
	v_mov_b32_e32 v2, v109
	v_pk_fma_f32 v[106:107], v[104:105], v[102:103], v[106:107] neg_lo:[0,0,1] neg_hi:[0,0,1]
	v_pk_fma_f32 v[102:103], v[104:105], v[102:103], v[2:3] op_sel:[1,0,0] op_sel_hi:[0,1,1]
	v_pk_add_f32 v[2:3], v[54:55], v[22:23]
	s_nop 0
	v_pk_add_f32 v[2:3], v[2:3], v[24:25]
	s_nop 0
	;; [unrolled: 2-line block ×4, first 2 shown]
	v_pk_mul_f32 v[4:5], v[2:3], v[34:35] op_sel_hi:[1,0]
	s_nop 0
	v_pk_fma_f32 v[34:35], v[2:3], v[100:101], v[4:5] op_sel:[0,0,1] op_sel_hi:[1,1,0] neg_lo:[0,0,1] neg_hi:[0,0,1]
	v_pk_fma_f32 v[100:101], v[2:3], v[100:101], v[4:5] op_sel:[0,0,1] op_sel_hi:[1,0,0]
	v_fmamk_f32 v2, v65, 0x3f167918, v72
	v_fmamk_f32 v3, v69, 0x3f167918, v66
	v_add_f32_e32 v2, v70, v2
	v_fmamk_f32 v4, v75, 0x3f167918, v92
	v_fmamk_f32 v5, v89, 0x3f167918, v76
	v_fma_f32 v76, v2, v6, -v7
	v_mul_f32_e32 v77, v2, v8
	v_add_f32_e32 v2, v60, v3
	v_mul_f32_e32 v3, v36, v114
	v_fma_f32 v74, v2, v44, -v3
	v_mul_f32_e32 v75, v2, v114
	v_add_f32_e32 v2, v90, v4
	v_mul_f32_e32 v3, v17, v61
	;; [unrolled: 4-line block ×3, first 2 shown]
	v_fma_f32 v70, v2, v62, -v3
	v_mul_f32_e32 v71, v2, v64
	v_pk_add_f32 v[2:3], v[22:23], v[24:25] neg_lo:[0,1] neg_hi:[0,1]
	v_pk_add_f32 v[4:5], v[28:29], v[26:27] neg_lo:[0,1] neg_hi:[0,1]
	;; [unrolled: 1-line block ×3, first 2 shown]
	v_pk_add_f32 v[78:79], v[2:3], v[4:5]
	v_pk_add_f32 v[2:3], v[24:25], v[26:27]
	v_fmac_f32_e32 v73, v17, v58
	v_pk_fma_f32 v[2:3], v[2:3], 0.5, v[54:55] op_sel_hi:[1,0,1] neg_lo:[1,0,0] neg_hi:[1,0,0]
	v_mov_b32_e32 v17, v87
	v_pk_fma_f32 v[4:5], v[84:85], s[22:23], v[2:3] op_sel:[1,0,0] op_sel_hi:[0,0,1]
	v_pk_add_f32 v[86:87], v[24:25], v[26:27] neg_lo:[0,1] neg_hi:[0,1]
	v_pk_fma_f32 v[2:3], v[84:85], s[22:23], v[2:3] op_sel:[1,0,0] op_sel_hi:[0,0,1] neg_lo:[1,0,0] neg_hi:[1,0,0]
	v_pk_fma_f32 v[88:89], v[86:87], s[20:21], v[2:3] op_sel:[1,0,0] op_sel_hi:[0,0,1] neg_lo:[1,0,0] neg_hi:[1,0,0]
	v_pk_fma_f32 v[2:3], v[86:87], s[20:21], v[4:5] op_sel:[1,0,0] op_sel_hi:[0,0,1]
	v_and_b32_e32 v2, 0x7c, v98
	v_lshlrev_b32_e32 v35, 3, v2
	v_or_b32_e32 v2, 32, v68
	v_fmac_f32_e32 v77, v11, v6
	v_fmamk_f32 v8, v87, 0x3f167918, v4
	v_pk_mul_f32 v[6:7], v[78:79], s[18:19] op_sel_hi:[1,0]
	v_mul_lo_u32 v2, v40, v2
	v_or_b32_e32 v4, 64, v68
	v_add_f32_e32 v90, v7, v89
	v_mov_b32_e32 v89, v3
	v_lshlrev_b32_sdwa v3, v43, v2 dst_sel:DWORD dst_unused:UNUSED_PAD src0_sel:DWORD src1_sel:BYTE_0
	v_lshlrev_b32_sdwa v2, v43, v2 dst_sel:DWORD dst_unused:UNUSED_PAD src0_sel:DWORD src1_sel:BYTE_1
	v_mul_lo_u32 v4, v40, v4
	v_fmac_f32_e32 v75, v36, v44
	v_lshlrev_b32_sdwa v5, v43, v4 dst_sel:DWORD dst_unused:UNUSED_PAD src0_sel:DWORD src1_sel:BYTE_0
	v_lshlrev_b32_sdwa v4, v43, v4 dst_sel:DWORD dst_unused:UNUSED_PAD src0_sel:DWORD src1_sel:BYTE_1
	global_load_dwordx2 v[58:59], v3, s[0:1]
	global_load_dwordx2 v[60:61], v2, s[0:1] offset:2048
	global_load_dwordx2 v[36:37], v5, s[0:1]
	global_load_dwordx2 v[56:57], v4, s[0:1] offset:2048
	v_or_b32_e32 v2, 0x60, v68
	v_mul_lo_u32 v2, v40, v2
	v_lshlrev_b32_sdwa v92, v43, v2 dst_sel:DWORD dst_unused:UNUSED_PAD src0_sel:DWORD src1_sel:BYTE_0
	v_lshlrev_b32_sdwa v98, v43, v2 dst_sel:DWORD dst_unused:UNUSED_PAD src0_sel:DWORD src1_sel:BYTE_1
	v_or_b32_e32 v2, 0x80, v68
	v_mul_lo_u32 v2, v40, v2
	v_mov_b32_e32 v11, v63
	v_fmac_f32_e32 v71, v67, v62
	v_add_f32_e32 v44, v6, v8
	v_lshlrev_b32_sdwa v100, v43, v2 dst_sel:DWORD dst_unused:UNUSED_PAD src0_sel:DWORD src1_sel:BYTE_0
	v_lshlrev_b32_sdwa v43, v43, v2 dst_sel:DWORD dst_unused:UNUSED_PAD src0_sel:DWORD src1_sel:BYTE_1
	global_load_dwordx2 v[66:67], v92, s[0:1]
	global_load_dwordx2 v[68:69], v98, s[0:1] offset:2048
	global_load_dwordx2 v[62:63], v100, s[0:1]
	global_load_dwordx2 v[64:65], v43, s[0:1] offset:2048
	global_load_dwordx4 v[2:5], v35, s[16:17] offset:256
	global_load_dwordx4 v[6:9], v35, s[16:17] offset:240
	v_pk_fma_f32 v[88:89], v[78:79], s[18:19], v[88:89] op_sel_hi:[1,0,1]
	v_mul_f32_e32 v43, v90, v93
	v_mul_f32_e32 v79, v44, v93
	v_fma_f32 v78, v44, v91, -v43
	v_fmac_f32_e32 v79, v90, v91
	v_pk_add_f32 v[90:91], v[22:23], v[28:29]
	v_pk_add_f32 v[22:23], v[24:25], v[22:23] neg_lo:[0,1] neg_hi:[0,1]
	v_pk_fma_f32 v[54:55], v[90:91], 0.5, v[54:55] op_sel_hi:[1,0,1] neg_lo:[1,0,0] neg_hi:[1,0,0]
	v_pk_add_f32 v[24:25], v[26:27], v[28:29] neg_lo:[0,1] neg_hi:[0,1]
	v_pk_fma_f32 v[26:27], v[86:87], s[22:23], v[54:55] op_sel:[1,0,0] op_sel_hi:[0,0,1]
	v_pk_add_f32 v[22:23], v[22:23], v[24:25]
	v_pk_fma_f32 v[24:25], v[86:87], s[22:23], v[54:55] op_sel:[1,0,0] op_sel_hi:[0,0,1] neg_lo:[1,0,0] neg_hi:[1,0,0]
	v_fmamk_f32 v43, v85, 0x3f167918, v24
	v_pk_fma_f32 v[26:27], v[84:85], s[20:21], v[26:27] op_sel:[1,0,0] op_sel_hi:[0,0,1] neg_lo:[1,0,0] neg_hi:[1,0,0]
	v_pk_fma_f32 v[24:25], v[84:85], s[20:21], v[24:25] op_sel:[1,0,0] op_sel_hi:[0,0,1]
	v_pk_mul_f32 v[28:29], v[22:23], s[18:19] op_sel_hi:[1,0]
	v_mov_b32_e32 v35, v101
	v_add_f32_e32 v24, v28, v43
	v_add_f32_e32 v43, v29, v27
	v_mov_b32_e32 v27, v25
	v_pk_fma_f32 v[22:23], v[22:23], s[18:19], v[26:27] op_sel_hi:[1,0,1]
	v_mul_f32_e32 v25, v43, v110
	v_fma_f32 v28, v24, v99, -v25
	v_mul_f32_e32 v29, v24, v110
	v_pk_mul_f32 v[24:25], v[22:23], v[82:83] op_sel_hi:[1,0]
	v_fmac_f32_e32 v29, v43, v99
	v_pk_fma_f32 v[26:27], v[22:23], v[80:81], v[24:25] op_sel:[0,0,1] op_sel_hi:[1,1,0] neg_lo:[0,0,1] neg_hi:[0,0,1]
	v_pk_fma_f32 v[22:23], v[22:23], v[80:81], v[24:25] op_sel:[0,0,1] op_sel_hi:[1,0,0]
	s_nop 0
	v_mov_b32_e32 v27, v23
	v_pk_mul_f32 v[22:23], v[88:89], v[102:103] op_sel_hi:[1,0]
	s_nop 0
	v_pk_fma_f32 v[24:25], v[88:89], v[106:107], v[22:23] op_sel:[0,0,1] op_sel_hi:[1,1,0] neg_lo:[0,0,1] neg_hi:[0,0,1]
	v_pk_fma_f32 v[22:23], v[88:89], v[106:107], v[22:23] op_sel:[0,0,1] op_sel_hi:[1,0,0]
	s_nop 0
	v_mov_b32_e32 v25, v23
	s_cbranch_vccnz .LBB0_18
; %bb.17:
	v_mad_u64_u32 v[22:23], s[0:1], s12, v38, 0
	v_mov_b32_e32 v44, v23
	v_mad_u64_u32 v[54:55], s[0:1], s13, v38, v[44:45]
	s_movk_i32 s0, 0x31f
	v_mov_b32_e32 v43, 0xa0
	v_cmp_lt_u32_e32 vcc, s0, v0
	v_mov_b32_e32 v23, v54
	s_movk_i32 s2, 0x180
	v_cndmask_b32_e32 v43, 0, v43, vcc
	v_or_b32_e32 v43, v1, v43
	v_mad_u64_u32 v[54:55], s[0:1], s8, v43, 0
	v_mov_b32_e32 v44, v55
	v_mad_u64_u32 v[80:81], s[0:1], s9, v43, v[44:45]
	s_lshl_b64 s[0:1], s[6:7], 3
	s_add_u32 s0, s14, s0
	s_addc_u32 s1, s15, s1
	v_mov_b32_e32 v55, v80
	v_lshl_add_u64 v[22:23], v[22:23], 3, s[0:1]
	v_lshl_add_u64 v[54:55], v[54:55], 3, v[22:23]
	v_add_u32_e32 v80, 32, v43
	global_store_dwordx2 v[54:55], v[12:13], off
	v_mad_u64_u32 v[54:55], s[0:1], s8, v80, 0
	v_mov_b32_e32 v44, v55
	v_mad_u64_u32 v[80:81], s[0:1], s9, v80, v[44:45]
	v_mov_b32_e32 v55, v80
	v_lshl_add_u64 v[54:55], v[54:55], 3, v[22:23]
	v_or_b32_e32 v80, 64, v43
	global_store_dwordx2 v[54:55], v[76:77], off
	v_mad_u64_u32 v[54:55], s[0:1], s8, v80, 0
	v_mov_b32_e32 v44, v55
	v_mad_u64_u32 v[80:81], s[0:1], s9, v80, v[44:45]
	v_mov_b32_e32 v55, v80
	v_lshl_add_u64 v[54:55], v[54:55], 3, v[22:23]
	v_add_u32_e32 v80, 0x60, v43
	global_store_dwordx2 v[54:55], v[74:75], off
	v_mad_u64_u32 v[54:55], s[0:1], s8, v80, 0
	v_mov_b32_e32 v44, v55
	v_mad_u64_u32 v[80:81], s[0:1], s9, v80, v[44:45]
	v_mov_b32_e32 v55, v80
	v_lshl_add_u64 v[54:55], v[54:55], 3, v[22:23]
	v_add_u32_e32 v43, 0x80, v43
	global_store_dwordx2 v[54:55], v[10:11], off
	v_mad_u64_u32 v[54:55], s[0:1], s8, v43, 0
	v_mov_b32_e32 v44, v55
	v_mad_u64_u32 v[80:81], s[0:1], s9, v43, v[44:45]
	v_mov_b32_e32 v55, v80
	v_lshl_add_u64 v[54:55], v[54:55], 3, v[22:23]
	v_and_or_b32 v43, v97, s2, v95
	global_store_dwordx2 v[54:55], v[14:15], off
	v_mad_u64_u32 v[54:55], s[0:1], s8, v43, 0
	v_mov_b32_e32 v44, v55
	v_mad_u64_u32 v[80:81], s[0:1], s9, v43, v[44:45]
	v_mov_b32_e32 v55, v80
	v_lshl_add_u64 v[54:55], v[54:55], 3, v[22:23]
	v_add_u32_e32 v80, 32, v43
	global_store_dwordx2 v[54:55], v[20:21], off
	v_mad_u64_u32 v[54:55], s[0:1], s8, v80, 0
	v_mov_b32_e32 v44, v55
	v_mad_u64_u32 v[80:81], s[0:1], s9, v80, v[44:45]
	v_mov_b32_e32 v55, v80
	v_lshl_add_u64 v[54:55], v[54:55], 3, v[22:23]
	v_add_u32_e32 v80, 64, v43
	;; [unrolled: 7-line block ×4, first 2 shown]
	global_store_dwordx2 v[54:55], v[16:17], off
	v_mad_u64_u32 v[54:55], s[0:1], s8, v43, 0
	v_mov_b32_e32 v44, v55
	v_mad_u64_u32 v[80:81], s[0:1], s9, v43, v[44:45]
	v_mov_b32_e32 v55, v80
	v_lshl_add_u64 v[54:55], v[54:55], 3, v[22:23]
	v_and_or_b32 v43, v96, s2, v94
	global_store_dwordx2 v[54:55], v[18:19], off
	v_mad_u64_u32 v[54:55], s[0:1], s8, v43, 0
	v_mov_b32_e32 v44, v55
	v_mad_u64_u32 v[80:81], s[0:1], s9, v43, v[44:45]
	v_mov_b32_e32 v55, v80
	v_lshl_add_u64 v[54:55], v[54:55], 3, v[22:23]
	v_add_u32_e32 v80, 32, v43
	global_store_dwordx2 v[54:55], v[34:35], off
	v_mad_u64_u32 v[54:55], s[0:1], s8, v80, 0
	v_mov_b32_e32 v44, v55
	v_mad_u64_u32 v[80:81], s[0:1], s9, v80, v[44:45]
	v_mov_b32_e32 v55, v80
	v_lshl_add_u64 v[54:55], v[54:55], 3, v[22:23]
	v_add_u32_e32 v80, 64, v43
	;; [unrolled: 7-line block ×4, first 2 shown]
	global_store_dwordx2 v[54:55], v[26:27], off
	v_mad_u64_u32 v[54:55], s[0:1], s8, v43, 0
	v_mov_b32_e32 v44, v55
	v_mad_u64_u32 v[80:81], s[0:1], s9, v43, v[44:45]
	v_mov_b32_e32 v55, v80
	v_lshl_add_u64 v[54:55], v[54:55], 3, v[22:23]
	s_and_b64 s[0:1], s[4:5], exec
	global_store_dwordx2 v[54:55], v[24:25], off
	s_cbranch_execz .LBB0_19
	s_branch .LBB0_22
.LBB0_18:
	s_mov_b64 s[0:1], 0
                                        ; implicit-def: $vgpr22_vgpr23
.LBB0_19:
	v_cmp_gt_u64_e32 vcc, s[10:11], v[40:41]
                                        ; implicit-def: $vgpr22_vgpr23
	s_and_saveexec_b64 s[2:3], vcc
	s_cbranch_execz .LBB0_21
; %bb.20:
	v_mad_u64_u32 v[22:23], s[10:11], s12, v38, 0
	v_mov_b32_e32 v40, v23
	v_mad_u64_u32 v[40:41], s[10:11], s13, v38, v[40:41]
	s_movk_i32 s10, 0x31f
	v_mov_b32_e32 v38, 0xa0
	v_cmp_lt_u32_e32 vcc, s10, v0
	v_mov_b32_e32 v23, v40
	s_lshl_b64 s[6:7], s[6:7], 3
	v_cndmask_b32_e32 v0, 0, v38, vcc
	v_or_b32_e32 v38, v1, v0
	v_mad_u64_u32 v[40:41], s[10:11], s8, v38, 0
	v_mov_b32_e32 v0, v41
	s_add_u32 s6, s14, s6
	v_mad_u64_u32 v[54:55], s[10:11], s9, v38, v[0:1]
	s_addc_u32 s7, s15, s7
	v_mov_b32_e32 v41, v54
	v_lshl_add_u64 v[22:23], v[22:23], 3, s[6:7]
	v_lshl_add_u64 v[40:41], v[40:41], 3, v[22:23]
	global_store_dwordx2 v[40:41], v[12:13], off
	v_add_u32_e32 v40, 32, v38
	v_mad_u64_u32 v[12:13], s[6:7], s8, v40, 0
	v_mov_b32_e32 v0, v13
	v_mad_u64_u32 v[40:41], s[6:7], s9, v40, v[0:1]
	v_mov_b32_e32 v13, v40
	v_lshl_add_u64 v[12:13], v[12:13], 3, v[22:23]
	v_or_b32_e32 v40, 64, v38
	global_store_dwordx2 v[12:13], v[76:77], off
	v_mad_u64_u32 v[12:13], s[6:7], s8, v40, 0
	v_mov_b32_e32 v0, v13
	v_mad_u64_u32 v[40:41], s[6:7], s9, v40, v[0:1]
	v_mov_b32_e32 v13, v40
	v_lshl_add_u64 v[12:13], v[12:13], 3, v[22:23]
	v_add_u32_e32 v40, 0x60, v38
	global_store_dwordx2 v[12:13], v[74:75], off
	v_mad_u64_u32 v[12:13], s[6:7], s8, v40, 0
	v_mov_b32_e32 v0, v13
	v_mad_u64_u32 v[40:41], s[6:7], s9, v40, v[0:1]
	v_mov_b32_e32 v13, v40
	v_lshl_add_u64 v[12:13], v[12:13], 3, v[22:23]
	global_store_dwordx2 v[12:13], v[10:11], off
	v_add_u32_e32 v12, 0x80, v38
	v_mad_u64_u32 v[10:11], s[6:7], s8, v12, 0
	v_mov_b32_e32 v0, v11
	v_mad_u64_u32 v[12:13], s[6:7], s9, v12, v[0:1]
	v_mov_b32_e32 v11, v12
	v_lshl_add_u64 v[10:11], v[10:11], 3, v[22:23]
	s_movk_i32 s10, 0x180
	global_store_dwordx2 v[10:11], v[14:15], off
	v_and_or_b32 v14, v97, s10, v95
	v_mad_u64_u32 v[10:11], s[6:7], s8, v14, 0
	v_mov_b32_e32 v0, v11
	v_mad_u64_u32 v[12:13], s[6:7], s9, v14, v[0:1]
	v_mov_b32_e32 v11, v12
	v_lshl_add_u64 v[10:11], v[10:11], 3, v[22:23]
	v_add_u32_e32 v12, 32, v14
	global_store_dwordx2 v[10:11], v[20:21], off
	v_mad_u64_u32 v[10:11], s[6:7], s8, v12, 0
	v_mov_b32_e32 v0, v11
	v_mad_u64_u32 v[12:13], s[6:7], s9, v12, v[0:1]
	v_mov_b32_e32 v11, v12
	v_lshl_add_u64 v[10:11], v[10:11], 3, v[22:23]
	v_add_u32_e32 v12, 64, v14
	global_store_dwordx2 v[10:11], v[72:73], off
	;; [unrolled: 7-line block ×4, first 2 shown]
	v_mad_u64_u32 v[10:11], s[6:7], s8, v12, 0
	v_mov_b32_e32 v0, v11
	v_mad_u64_u32 v[12:13], s[6:7], s9, v12, v[0:1]
	v_mov_b32_e32 v11, v12
	v_lshl_add_u64 v[10:11], v[10:11], 3, v[22:23]
	v_and_or_b32 v14, v96, s10, v94
	global_store_dwordx2 v[10:11], v[18:19], off
	v_mad_u64_u32 v[10:11], s[6:7], s8, v14, 0
	v_mov_b32_e32 v0, v11
	v_mad_u64_u32 v[12:13], s[6:7], s9, v14, v[0:1]
	v_mov_b32_e32 v11, v12
	v_lshl_add_u64 v[10:11], v[10:11], 3, v[22:23]
	v_add_u32_e32 v12, 32, v14
	global_store_dwordx2 v[10:11], v[34:35], off
	v_mad_u64_u32 v[10:11], s[6:7], s8, v12, 0
	v_mov_b32_e32 v0, v11
	v_mad_u64_u32 v[12:13], s[6:7], s9, v12, v[0:1]
	v_mov_b32_e32 v11, v12
	v_lshl_add_u64 v[10:11], v[10:11], 3, v[22:23]
	v_add_u32_e32 v12, 64, v14
	;; [unrolled: 7-line block ×4, first 2 shown]
	global_store_dwordx2 v[10:11], v[26:27], off
	v_mad_u64_u32 v[10:11], s[6:7], s8, v12, 0
	v_mov_b32_e32 v0, v11
	v_mad_u64_u32 v[12:13], s[6:7], s9, v12, v[0:1]
	v_mov_b32_e32 v11, v12
	s_andn2_b64 s[0:1], s[0:1], exec
	s_and_b64 s[4:5], s[4:5], exec
	v_lshl_add_u64 v[10:11], v[10:11], 3, v[22:23]
	s_or_b64 s[0:1], s[0:1], s[4:5]
	global_store_dwordx2 v[10:11], v[24:25], off
.LBB0_21:
	s_or_b64 exec, exec, s[2:3]
.LBB0_22:
	s_and_saveexec_b64 s[2:3], s[0:1]
	s_cbranch_execnz .LBB0_24
; %bb.23:
	s_endpgm
.LBB0_24:
	v_mov_b32_e32 v0, v33
	v_pk_mul_f32 v[12:13], v[30:31], v[32:33] op_sel:[1,0] op_sel_hi:[0,1]
	v_pk_mul_f32 v[10:11], v[30:31], v[0:1] op_sel:[1,0] op_sel_hi:[0,1]
	v_mov_b32_e32 v0, v13
	v_pk_fma_f32 v[12:13], v[30:31], v[32:33], v[0:1] op_sel:[1,0,0] op_sel_hi:[0,1,1]
	s_waitcnt vmcnt(8)
	v_mul_f32_e32 v0, v59, v61
	v_fma_f32 v38, v58, v60, -v0
	s_waitcnt vmcnt(6)
	v_mul_f32_e32 v0, v37, v57
	v_fma_f32 v41, v36, v56, -v0
	s_waitcnt vmcnt(4)
	v_mov_b32_e32 v0, v69
	v_pk_mul_f32 v[16:17], v[66:67], v[68:69] op_sel:[1,0] op_sel_hi:[0,1]
	v_pk_mul_f32 v[14:15], v[66:67], v[0:1] op_sel:[1,0] op_sel_hi:[0,1]
	v_mov_b32_e32 v0, v17
	v_pk_fma_f32 v[16:17], v[66:67], v[68:69], v[0:1] op_sel:[1,0,0] op_sel_hi:[0,1,1]
	s_waitcnt vmcnt(2)
	v_mov_b32_e32 v0, v65
	v_pk_mul_f32 v[20:21], v[62:63], v[64:65] op_sel:[1,0] op_sel_hi:[0,1]
	v_pk_mul_f32 v[18:19], v[62:63], v[0:1] op_sel:[1,0] op_sel_hi:[0,1]
	v_mov_b32_e32 v0, v21
	v_pk_fma_f32 v[20:21], v[62:63], v[64:65], v[0:1] op_sel:[1,0,0] op_sel_hi:[0,1,1]
	v_mov_b32_e32 v0, v53
	s_waitcnt vmcnt(0)
	v_pk_mul_f32 v[24:25], v[0:1], v[6:7] op_sel_hi:[0,1]
	v_pk_fma_f32 v[26:27], v[52:53], v[6:7], v[24:25] op_sel:[0,0,1] op_sel_hi:[1,1,0] neg_lo:[0,0,1] neg_hi:[0,0,1]
	v_pk_fma_f32 v[6:7], v[52:53], v[6:7], v[24:25] op_sel:[0,0,1] op_sel_hi:[0,1,0]
	v_mov_b32_e32 v0, v51
	v_mov_b32_e32 v27, v7
	v_pk_mul_f32 v[6:7], v[0:1], v[8:9] op_sel_hi:[0,1]
	v_pk_fma_f32 v[24:25], v[50:51], v[8:9], v[6:7] op_sel:[0,0,1] op_sel_hi:[1,1,0] neg_lo:[0,0,1] neg_hi:[0,0,1]
	v_pk_fma_f32 v[6:7], v[50:51], v[8:9], v[6:7] op_sel:[0,0,1] op_sel_hi:[0,1,0]
	v_mov_b32_e32 v0, v49
	v_mov_b32_e32 v25, v7
	;; [unrolled: 5-line block ×4, first 2 shown]
	v_pk_add_f32 v[2:3], v[24:25], v[8:9]
	v_pk_fma_f32 v[10:11], v[30:31], v[32:33], v[10:11] neg_lo:[0,0,1] neg_hi:[0,0,1]
	v_pk_fma_f32 v[2:3], v[2:3], 0.5, v[42:43] op_sel_hi:[1,0,1] neg_lo:[1,0,0] neg_hi:[1,0,0]
	v_pk_add_f32 v[4:5], v[26:27], v[6:7] neg_lo:[0,1] neg_hi:[0,1]
	s_mov_b32 s0, 0x3f737871
	v_pk_add_f32 v[32:33], v[26:27], v[24:25] neg_lo:[0,1] neg_hi:[0,1]
	v_pk_add_f32 v[34:35], v[6:7], v[8:9] neg_lo:[0,1] neg_hi:[0,1]
	v_pk_fma_f32 v[28:29], v[4:5], s[0:1], v[2:3] op_sel:[1,0,0] op_sel_hi:[0,0,1]
	v_pk_add_f32 v[30:31], v[24:25], v[8:9] neg_lo:[0,1] neg_hi:[0,1]
	s_mov_b32 s2, 0x3f167918
	v_pk_add_f32 v[32:33], v[32:33], v[34:35]
	s_mov_b32 s4, 0x3e9e377a
	v_pk_fma_f32 v[2:3], v[4:5], s[0:1], v[2:3] op_sel:[1,0,0] op_sel_hi:[0,0,1] neg_lo:[1,0,0] neg_hi:[1,0,0]
	v_pk_mul_f32 v[34:35], v[32:33], s[4:5] op_sel_hi:[1,0]
	v_fmamk_f32 v0, v31, 0x3f167918, v28
	v_pk_fma_f32 v[2:3], v[30:31], s[2:3], v[2:3] op_sel:[1,0,0] op_sel_hi:[0,0,1] neg_lo:[1,0,0] neg_hi:[1,0,0]
	v_pk_fma_f32 v[28:29], v[30:31], s[2:3], v[28:29] op_sel:[1,0,0] op_sel_hi:[0,0,1]
	v_add_f32_e32 v0, v34, v0
	v_add_f32_e32 v34, v35, v3
	v_mov_b32_e32 v3, v29
	v_pk_add_f32 v[28:29], v[42:43], v[26:27]
	v_mul_f32_e32 v40, v58, v61
	v_pk_add_f32 v[28:29], v[28:29], v[24:25]
	v_fmac_f32_e32 v40, v59, v60
	v_pk_add_f32 v[28:29], v[28:29], v[8:9]
	v_pk_fma_f32 v[2:3], v[32:33], s[4:5], v[2:3] op_sel_hi:[1,0,1]
	v_pk_add_f32 v[28:29], v[28:29], v[6:7]
	v_pk_add_f32 v[24:25], v[24:25], v[26:27] neg_lo:[0,1] neg_hi:[0,1]
	v_pk_mul_f32 v[12:13], v[28:29], v[12:13] op_sel_hi:[1,0]
	v_mul_f32_e32 v36, v36, v57
	v_pk_fma_f32 v[32:33], v[28:29], v[10:11], v[12:13] op_sel:[0,0,1] op_sel_hi:[1,1,0] neg_lo:[0,0,1] neg_hi:[0,0,1]
	v_pk_fma_f32 v[10:11], v[28:29], v[10:11], v[12:13] op_sel:[0,0,1] op_sel_hi:[1,0,0]
	v_pk_add_f32 v[28:29], v[26:27], v[6:7]
	v_mul_f32_e32 v13, v0, v40
	v_pk_fma_f32 v[28:29], v[28:29], 0.5, v[42:43] op_sel_hi:[1,0,1] neg_lo:[1,0,0] neg_hi:[1,0,0]
	v_pk_add_f32 v[6:7], v[8:9], v[6:7] neg_lo:[0,1] neg_hi:[0,1]
	v_mul_f32_e32 v10, v34, v40
	v_fmac_f32_e32 v13, v34, v38
	v_pk_fma_f32 v[34:35], v[30:31], s[0:1], v[28:29] op_sel:[1,0,0] op_sel_hi:[0,0,1] neg_lo:[1,0,0] neg_hi:[1,0,0]
	v_pk_add_f32 v[6:7], v[24:25], v[6:7]
	v_pk_fma_f32 v[24:25], v[30:31], s[0:1], v[28:29] op_sel:[1,0,0] op_sel_hi:[0,0,1]
	v_fma_f32 v12, v0, v38, -v10
	v_pk_mul_f32 v[8:9], v[6:7], s[4:5] op_sel_hi:[1,0]
	v_fmamk_f32 v0, v5, 0x3f167918, v34
	v_pk_fma_f32 v[24:25], v[4:5], s[2:3], v[24:25] op_sel:[1,0,0] op_sel_hi:[0,0,1] neg_lo:[1,0,0] neg_hi:[1,0,0]
	v_pk_fma_f32 v[4:5], v[4:5], s[2:3], v[34:35] op_sel:[1,0,0] op_sel_hi:[0,0,1]
	v_fmac_f32_e32 v36, v37, v56
	v_add_f32_e32 v0, v8, v0
	v_add_f32_e32 v8, v9, v25
	v_mov_b32_e32 v25, v5
	v_pk_fma_f32 v[4:5], v[6:7], s[4:5], v[24:25] op_sel_hi:[1,0,1]
	v_mul_f32_e32 v7, v0, v36
	v_pk_fma_f32 v[14:15], v[66:67], v[68:69], v[14:15] neg_lo:[0,0,1] neg_hi:[0,0,1]
	v_mul_f32_e32 v6, v8, v36
	v_fmac_f32_e32 v7, v8, v41
	v_pk_mul_f32 v[8:9], v[4:5], v[16:17] op_sel_hi:[1,0]
	v_pk_fma_f32 v[18:19], v[62:63], v[64:65], v[18:19] neg_lo:[0,0,1] neg_hi:[0,0,1]
	v_pk_fma_f32 v[16:17], v[4:5], v[14:15], v[8:9] op_sel:[0,0,1] op_sel_hi:[1,1,0] neg_lo:[0,0,1] neg_hi:[0,0,1]
	v_pk_fma_f32 v[4:5], v[4:5], v[14:15], v[8:9] op_sel:[0,0,1] op_sel_hi:[1,0,0]
	v_pk_mul_f32 v[8:9], v[2:3], v[20:21] op_sel_hi:[1,0]
	v_fma_f32 v6, v0, v41, -v6
	v_pk_fma_f32 v[14:15], v[2:3], v[18:19], v[8:9] op_sel:[0,0,1] op_sel_hi:[1,1,0] neg_lo:[0,0,1] neg_hi:[0,0,1]
	v_pk_fma_f32 v[2:3], v[2:3], v[18:19], v[8:9] op_sel:[0,0,1] op_sel_hi:[1,0,0]
	v_mad_u64_u32 v[8:9], s[0:1], s8, v39, 0
	v_mov_b32_e32 v0, v9
	v_mad_u64_u32 v[18:19], s[0:1], s9, v39, v[0:1]
	v_mov_b32_e32 v9, v18
	v_lshl_add_u64 v[8:9], v[8:9], 3, v[22:23]
	v_mov_b32_e32 v33, v11
	v_add_u32_e32 v2, 62, v1
	global_store_dwordx2 v[8:9], v[32:33], off
	v_mad_u64_u32 v[8:9], s[0:1], s8, v2, 0
	v_mov_b32_e32 v0, v9
	v_mad_u64_u32 v[10:11], s[0:1], s9, v2, v[0:1]
	v_mov_b32_e32 v9, v10
	v_lshl_add_u64 v[8:9], v[8:9], 3, v[22:23]
	v_add_u32_e32 v2, 0x5e, v1
	global_store_dwordx2 v[8:9], v[12:13], off
	v_mad_u64_u32 v[8:9], s[0:1], s8, v2, 0
	v_mov_b32_e32 v0, v9
	v_mad_u64_u32 v[10:11], s[0:1], s9, v2, v[0:1]
	v_mov_b32_e32 v9, v10
	v_lshl_add_u64 v[8:9], v[8:9], 3, v[22:23]
	v_add_u32_e32 v2, 0x7e, v1
	global_store_dwordx2 v[8:9], v[6:7], off
	v_mad_u64_u32 v[6:7], s[0:1], s8, v2, 0
	v_mov_b32_e32 v0, v7
	v_add_u32_e32 v4, 0x9e, v1
	v_mad_u64_u32 v[8:9], s[0:1], s9, v2, v[0:1]
	v_mad_u64_u32 v[0:1], s[0:1], s8, v4, 0
	v_mov_b32_e32 v2, v1
	v_mov_b32_e32 v17, v5
	v_mad_u64_u32 v[4:5], s[0:1], s9, v4, v[2:3]
	v_mov_b32_e32 v7, v8
	v_mov_b32_e32 v1, v4
	v_lshl_add_u64 v[6:7], v[6:7], 3, v[22:23]
	v_lshl_add_u64 v[0:1], v[0:1], 3, v[22:23]
	v_mov_b32_e32 v15, v3
	global_store_dwordx2 v[6:7], v[16:17], off
	global_store_dwordx2 v[0:1], v[14:15], off
	s_endpgm
	.section	.rodata,"a",@progbits
	.p2align	6, 0x0
	.amdhsa_kernel fft_rtc_fwd_len160_factors_2_4_4_5_wgs_250_tpt_10_dim3_sp_ip_CI_sbcc_twdbase8_2step_dirReg
		.amdhsa_group_segment_fixed_size 0
		.amdhsa_private_segment_fixed_size 0
		.amdhsa_kernarg_size 88
		.amdhsa_user_sgpr_count 2
		.amdhsa_user_sgpr_dispatch_ptr 0
		.amdhsa_user_sgpr_queue_ptr 0
		.amdhsa_user_sgpr_kernarg_segment_ptr 1
		.amdhsa_user_sgpr_dispatch_id 0
		.amdhsa_user_sgpr_kernarg_preload_length 0
		.amdhsa_user_sgpr_kernarg_preload_offset 0
		.amdhsa_user_sgpr_private_segment_size 0
		.amdhsa_uses_dynamic_stack 0
		.amdhsa_enable_private_segment 0
		.amdhsa_system_sgpr_workgroup_id_x 1
		.amdhsa_system_sgpr_workgroup_id_y 0
		.amdhsa_system_sgpr_workgroup_id_z 0
		.amdhsa_system_sgpr_workgroup_info 0
		.amdhsa_system_vgpr_workitem_id 0
		.amdhsa_next_free_vgpr 118
		.amdhsa_next_free_sgpr 27
		.amdhsa_accum_offset 120
		.amdhsa_reserve_vcc 1
		.amdhsa_float_round_mode_32 0
		.amdhsa_float_round_mode_16_64 0
		.amdhsa_float_denorm_mode_32 3
		.amdhsa_float_denorm_mode_16_64 3
		.amdhsa_dx10_clamp 1
		.amdhsa_ieee_mode 1
		.amdhsa_fp16_overflow 0
		.amdhsa_tg_split 0
		.amdhsa_exception_fp_ieee_invalid_op 0
		.amdhsa_exception_fp_denorm_src 0
		.amdhsa_exception_fp_ieee_div_zero 0
		.amdhsa_exception_fp_ieee_overflow 0
		.amdhsa_exception_fp_ieee_underflow 0
		.amdhsa_exception_fp_ieee_inexact 0
		.amdhsa_exception_int_div_zero 0
	.end_amdhsa_kernel
	.text
.Lfunc_end0:
	.size	fft_rtc_fwd_len160_factors_2_4_4_5_wgs_250_tpt_10_dim3_sp_ip_CI_sbcc_twdbase8_2step_dirReg, .Lfunc_end0-fft_rtc_fwd_len160_factors_2_4_4_5_wgs_250_tpt_10_dim3_sp_ip_CI_sbcc_twdbase8_2step_dirReg
                                        ; -- End function
	.section	.AMDGPU.csdata,"",@progbits
; Kernel info:
; codeLenInByte = 11088
; NumSgprs: 33
; NumVgprs: 118
; NumAgprs: 0
; TotalNumVgprs: 118
; ScratchSize: 0
; MemoryBound: 0
; FloatMode: 240
; IeeeMode: 1
; LDSByteSize: 0 bytes/workgroup (compile time only)
; SGPRBlocks: 4
; VGPRBlocks: 14
; NumSGPRsForWavesPerEU: 33
; NumVGPRsForWavesPerEU: 118
; AccumOffset: 120
; Occupancy: 4
; WaveLimiterHint : 1
; COMPUTE_PGM_RSRC2:SCRATCH_EN: 0
; COMPUTE_PGM_RSRC2:USER_SGPR: 2
; COMPUTE_PGM_RSRC2:TRAP_HANDLER: 0
; COMPUTE_PGM_RSRC2:TGID_X_EN: 1
; COMPUTE_PGM_RSRC2:TGID_Y_EN: 0
; COMPUTE_PGM_RSRC2:TGID_Z_EN: 0
; COMPUTE_PGM_RSRC2:TIDIG_COMP_CNT: 0
; COMPUTE_PGM_RSRC3_GFX90A:ACCUM_OFFSET: 29
; COMPUTE_PGM_RSRC3_GFX90A:TG_SPLIT: 0
	.text
	.p2alignl 6, 3212836864
	.fill 256, 4, 3212836864
	.type	__hip_cuid_1fc93aee158bbf24,@object ; @__hip_cuid_1fc93aee158bbf24
	.section	.bss,"aw",@nobits
	.globl	__hip_cuid_1fc93aee158bbf24
__hip_cuid_1fc93aee158bbf24:
	.byte	0                               ; 0x0
	.size	__hip_cuid_1fc93aee158bbf24, 1

	.ident	"AMD clang version 19.0.0git (https://github.com/RadeonOpenCompute/llvm-project roc-6.4.0 25133 c7fe45cf4b819c5991fe208aaa96edf142730f1d)"
	.section	".note.GNU-stack","",@progbits
	.addrsig
	.addrsig_sym __hip_cuid_1fc93aee158bbf24
	.amdgpu_metadata
---
amdhsa.kernels:
  - .agpr_count:     0
    .args:
      - .actual_access:  read_only
        .address_space:  global
        .offset:         0
        .size:           8
        .value_kind:     global_buffer
      - .address_space:  global
        .offset:         8
        .size:           8
        .value_kind:     global_buffer
      - .actual_access:  read_only
        .address_space:  global
        .offset:         16
        .size:           8
        .value_kind:     global_buffer
      - .actual_access:  read_only
        .address_space:  global
        .offset:         24
        .size:           8
        .value_kind:     global_buffer
      - .offset:         32
        .size:           8
        .value_kind:     by_value
      - .actual_access:  read_only
        .address_space:  global
        .offset:         40
        .size:           8
        .value_kind:     global_buffer
      - .actual_access:  read_only
        .address_space:  global
        .offset:         48
        .size:           8
        .value_kind:     global_buffer
      - .offset:         56
        .size:           4
        .value_kind:     by_value
      - .actual_access:  read_only
        .address_space:  global
        .offset:         64
        .size:           8
        .value_kind:     global_buffer
      - .actual_access:  read_only
        .address_space:  global
        .offset:         72
        .size:           8
        .value_kind:     global_buffer
      - .address_space:  global
        .offset:         80
        .size:           8
        .value_kind:     global_buffer
    .group_segment_fixed_size: 0
    .kernarg_segment_align: 8
    .kernarg_segment_size: 88
    .language:       OpenCL C
    .language_version:
      - 2
      - 0
    .max_flat_workgroup_size: 250
    .name:           fft_rtc_fwd_len160_factors_2_4_4_5_wgs_250_tpt_10_dim3_sp_ip_CI_sbcc_twdbase8_2step_dirReg
    .private_segment_fixed_size: 0
    .sgpr_count:     33
    .sgpr_spill_count: 0
    .symbol:         fft_rtc_fwd_len160_factors_2_4_4_5_wgs_250_tpt_10_dim3_sp_ip_CI_sbcc_twdbase8_2step_dirReg.kd
    .uniform_work_group_size: 1
    .uses_dynamic_stack: false
    .vgpr_count:     118
    .vgpr_spill_count: 0
    .wavefront_size: 64
amdhsa.target:   amdgcn-amd-amdhsa--gfx950
amdhsa.version:
  - 1
  - 2
...

	.end_amdgpu_metadata
